;; amdgpu-corpus repo=ROCm/rocSPARSE kind=compiled arch=gfx1100 opt=O3
	.text
	.amdgcn_target "amdgcn-amd-amdhsa--gfx1100"
	.amdhsa_code_object_version 6
	.section	.text._ZN9rocsparseL12axpyi_kernelILj256Efi18rocsparse_bfloat16S1_EEvT1_NS_24const_host_device_scalarIT0_EEPKT2_PKS2_PT3_21rocsparse_index_base_b,"axG",@progbits,_ZN9rocsparseL12axpyi_kernelILj256Efi18rocsparse_bfloat16S1_EEvT1_NS_24const_host_device_scalarIT0_EEPKT2_PKS2_PT3_21rocsparse_index_base_b,comdat
	.globl	_ZN9rocsparseL12axpyi_kernelILj256Efi18rocsparse_bfloat16S1_EEvT1_NS_24const_host_device_scalarIT0_EEPKT2_PKS2_PT3_21rocsparse_index_base_b ; -- Begin function _ZN9rocsparseL12axpyi_kernelILj256Efi18rocsparse_bfloat16S1_EEvT1_NS_24const_host_device_scalarIT0_EEPKT2_PKS2_PT3_21rocsparse_index_base_b
	.p2align	8
	.type	_ZN9rocsparseL12axpyi_kernelILj256Efi18rocsparse_bfloat16S1_EEvT1_NS_24const_host_device_scalarIT0_EEPKT2_PKS2_PT3_21rocsparse_index_base_b,@function
_ZN9rocsparseL12axpyi_kernelILj256Efi18rocsparse_bfloat16S1_EEvT1_NS_24const_host_device_scalarIT0_EEPKT2_PKS2_PT3_21rocsparse_index_base_b: ; @_ZN9rocsparseL12axpyi_kernelILj256Efi18rocsparse_bfloat16S1_EEvT1_NS_24const_host_device_scalarIT0_EEPKT2_PKS2_PT3_21rocsparse_index_base_b
; %bb.0:
	s_endpgm
	.section	.rodata,"a",@progbits
	.p2align	6, 0x0
	.amdhsa_kernel _ZN9rocsparseL12axpyi_kernelILj256Efi18rocsparse_bfloat16S1_EEvT1_NS_24const_host_device_scalarIT0_EEPKT2_PKS2_PT3_21rocsparse_index_base_b
		.amdhsa_group_segment_fixed_size 0
		.amdhsa_private_segment_fixed_size 0
		.amdhsa_kernarg_size 48
		.amdhsa_user_sgpr_count 15
		.amdhsa_user_sgpr_dispatch_ptr 0
		.amdhsa_user_sgpr_queue_ptr 0
		.amdhsa_user_sgpr_kernarg_segment_ptr 1
		.amdhsa_user_sgpr_dispatch_id 0
		.amdhsa_user_sgpr_private_segment_size 0
		.amdhsa_wavefront_size32 1
		.amdhsa_uses_dynamic_stack 0
		.amdhsa_enable_private_segment 0
		.amdhsa_system_sgpr_workgroup_id_x 1
		.amdhsa_system_sgpr_workgroup_id_y 0
		.amdhsa_system_sgpr_workgroup_id_z 0
		.amdhsa_system_sgpr_workgroup_info 0
		.amdhsa_system_vgpr_workitem_id 0
		.amdhsa_next_free_vgpr 1
		.amdhsa_next_free_sgpr 1
		.amdhsa_reserve_vcc 0
		.amdhsa_float_round_mode_32 0
		.amdhsa_float_round_mode_16_64 0
		.amdhsa_float_denorm_mode_32 3
		.amdhsa_float_denorm_mode_16_64 3
		.amdhsa_dx10_clamp 1
		.amdhsa_ieee_mode 1
		.amdhsa_fp16_overflow 0
		.amdhsa_workgroup_processor_mode 1
		.amdhsa_memory_ordered 1
		.amdhsa_forward_progress 0
		.amdhsa_shared_vgpr_count 0
		.amdhsa_exception_fp_ieee_invalid_op 0
		.amdhsa_exception_fp_denorm_src 0
		.amdhsa_exception_fp_ieee_div_zero 0
		.amdhsa_exception_fp_ieee_overflow 0
		.amdhsa_exception_fp_ieee_underflow 0
		.amdhsa_exception_fp_ieee_inexact 0
		.amdhsa_exception_int_div_zero 0
	.end_amdhsa_kernel
	.section	.text._ZN9rocsparseL12axpyi_kernelILj256Efi18rocsparse_bfloat16S1_EEvT1_NS_24const_host_device_scalarIT0_EEPKT2_PKS2_PT3_21rocsparse_index_base_b,"axG",@progbits,_ZN9rocsparseL12axpyi_kernelILj256Efi18rocsparse_bfloat16S1_EEvT1_NS_24const_host_device_scalarIT0_EEPKT2_PKS2_PT3_21rocsparse_index_base_b,comdat
.Lfunc_end0:
	.size	_ZN9rocsparseL12axpyi_kernelILj256Efi18rocsparse_bfloat16S1_EEvT1_NS_24const_host_device_scalarIT0_EEPKT2_PKS2_PT3_21rocsparse_index_base_b, .Lfunc_end0-_ZN9rocsparseL12axpyi_kernelILj256Efi18rocsparse_bfloat16S1_EEvT1_NS_24const_host_device_scalarIT0_EEPKT2_PKS2_PT3_21rocsparse_index_base_b
                                        ; -- End function
	.section	.AMDGPU.csdata,"",@progbits
; Kernel info:
; codeLenInByte = 4
; NumSgprs: 0
; NumVgprs: 0
; ScratchSize: 0
; MemoryBound: 0
; FloatMode: 240
; IeeeMode: 1
; LDSByteSize: 0 bytes/workgroup (compile time only)
; SGPRBlocks: 0
; VGPRBlocks: 0
; NumSGPRsForWavesPerEU: 1
; NumVGPRsForWavesPerEU: 1
; Occupancy: 16
; WaveLimiterHint : 0
; COMPUTE_PGM_RSRC2:SCRATCH_EN: 0
; COMPUTE_PGM_RSRC2:USER_SGPR: 15
; COMPUTE_PGM_RSRC2:TRAP_HANDLER: 0
; COMPUTE_PGM_RSRC2:TGID_X_EN: 1
; COMPUTE_PGM_RSRC2:TGID_Y_EN: 0
; COMPUTE_PGM_RSRC2:TGID_Z_EN: 0
; COMPUTE_PGM_RSRC2:TIDIG_COMP_CNT: 0
	.section	.text._ZN9rocsparseL12axpyi_kernelILj256EfiDF16_DF16_EEvT1_NS_24const_host_device_scalarIT0_EEPKT2_PKS1_PT3_21rocsparse_index_base_b,"axG",@progbits,_ZN9rocsparseL12axpyi_kernelILj256EfiDF16_DF16_EEvT1_NS_24const_host_device_scalarIT0_EEPKT2_PKS1_PT3_21rocsparse_index_base_b,comdat
	.globl	_ZN9rocsparseL12axpyi_kernelILj256EfiDF16_DF16_EEvT1_NS_24const_host_device_scalarIT0_EEPKT2_PKS1_PT3_21rocsparse_index_base_b ; -- Begin function _ZN9rocsparseL12axpyi_kernelILj256EfiDF16_DF16_EEvT1_NS_24const_host_device_scalarIT0_EEPKT2_PKS1_PT3_21rocsparse_index_base_b
	.p2align	8
	.type	_ZN9rocsparseL12axpyi_kernelILj256EfiDF16_DF16_EEvT1_NS_24const_host_device_scalarIT0_EEPKT2_PKS1_PT3_21rocsparse_index_base_b,@function
_ZN9rocsparseL12axpyi_kernelILj256EfiDF16_DF16_EEvT1_NS_24const_host_device_scalarIT0_EEPKT2_PKS1_PT3_21rocsparse_index_base_b: ; @_ZN9rocsparseL12axpyi_kernelILj256EfiDF16_DF16_EEvT1_NS_24const_host_device_scalarIT0_EEPKT2_PKS1_PT3_21rocsparse_index_base_b
; %bb.0:
	s_clause 0x1
	s_load_b64 s[4:5], s[0:1], 0x28
	s_load_b64 s[2:3], s[0:1], 0x8
	s_waitcnt lgkmcnt(0)
	s_bitcmp1_b32 s5, 0
	s_cselect_b32 s5, -1, 0
	s_delay_alu instid0(SALU_CYCLE_1)
	s_and_b32 vcc_lo, exec_lo, s5
	s_cbranch_vccnz .LBB1_2
; %bb.1:
	s_load_b32 s2, s[2:3], 0x0
.LBB1_2:
	s_load_b32 s3, s[0:1], 0x0
	v_lshl_or_b32 v0, s15, 8, v0
	s_waitcnt lgkmcnt(0)
	v_cmp_neq_f32_e64 s5, s2, 0
	s_delay_alu instid0(VALU_DEP_2) | instskip(NEXT) | instid1(VALU_DEP_2)
	v_cmp_gt_i32_e32 vcc_lo, s3, v0
	s_and_b32 s3, s5, vcc_lo
	s_delay_alu instid0(SALU_CYCLE_1)
	s_and_saveexec_b32 s5, s3
	s_cbranch_execz .LBB1_4
; %bb.3:
	s_load_b128 s[8:11], s[0:1], 0x10
	v_ashrrev_i32_e32 v1, 31, v0
	s_load_b64 s[0:1], s[0:1], 0x20
	s_delay_alu instid0(VALU_DEP_1) | instskip(SKIP_2) | instid1(VALU_DEP_2)
	v_lshlrev_b64 v[2:3], 2, v[0:1]
	v_lshlrev_b64 v[0:1], 1, v[0:1]
	s_waitcnt lgkmcnt(0)
	v_add_co_u32 v2, vcc_lo, s10, v2
	s_delay_alu instid0(VALU_DEP_3) | instskip(NEXT) | instid1(VALU_DEP_3)
	v_add_co_ci_u32_e32 v3, vcc_lo, s11, v3, vcc_lo
	v_add_co_u32 v0, vcc_lo, s8, v0
	s_delay_alu instid0(VALU_DEP_4) | instskip(SKIP_3) | instid1(VALU_DEP_1)
	v_add_co_ci_u32_e32 v1, vcc_lo, s9, v1, vcc_lo
	global_load_b32 v2, v[2:3], off
	s_waitcnt vmcnt(0)
	v_subrev_nc_u32_e32 v2, s4, v2
	v_ashrrev_i32_e32 v3, 31, v2
	s_delay_alu instid0(VALU_DEP_1) | instskip(NEXT) | instid1(VALU_DEP_1)
	v_lshlrev_b64 v[2:3], 1, v[2:3]
	v_add_co_u32 v2, vcc_lo, s0, v2
	s_delay_alu instid0(VALU_DEP_2)
	v_add_co_ci_u32_e32 v3, vcc_lo, s1, v3, vcc_lo
	global_load_u16 v0, v[0:1], off
	global_load_u16 v1, v[2:3], off
	s_waitcnt vmcnt(0)
	v_fma_mixlo_f16 v0, s2, v0, v1 op_sel_hi:[0,1,1]
	global_store_b16 v[2:3], v0, off
.LBB1_4:
	s_nop 0
	s_sendmsg sendmsg(MSG_DEALLOC_VGPRS)
	s_endpgm
	.section	.rodata,"a",@progbits
	.p2align	6, 0x0
	.amdhsa_kernel _ZN9rocsparseL12axpyi_kernelILj256EfiDF16_DF16_EEvT1_NS_24const_host_device_scalarIT0_EEPKT2_PKS1_PT3_21rocsparse_index_base_b
		.amdhsa_group_segment_fixed_size 0
		.amdhsa_private_segment_fixed_size 0
		.amdhsa_kernarg_size 48
		.amdhsa_user_sgpr_count 15
		.amdhsa_user_sgpr_dispatch_ptr 0
		.amdhsa_user_sgpr_queue_ptr 0
		.amdhsa_user_sgpr_kernarg_segment_ptr 1
		.amdhsa_user_sgpr_dispatch_id 0
		.amdhsa_user_sgpr_private_segment_size 0
		.amdhsa_wavefront_size32 1
		.amdhsa_uses_dynamic_stack 0
		.amdhsa_enable_private_segment 0
		.amdhsa_system_sgpr_workgroup_id_x 1
		.amdhsa_system_sgpr_workgroup_id_y 0
		.amdhsa_system_sgpr_workgroup_id_z 0
		.amdhsa_system_sgpr_workgroup_info 0
		.amdhsa_system_vgpr_workitem_id 0
		.amdhsa_next_free_vgpr 4
		.amdhsa_next_free_sgpr 16
		.amdhsa_reserve_vcc 1
		.amdhsa_float_round_mode_32 0
		.amdhsa_float_round_mode_16_64 0
		.amdhsa_float_denorm_mode_32 3
		.amdhsa_float_denorm_mode_16_64 3
		.amdhsa_dx10_clamp 1
		.amdhsa_ieee_mode 1
		.amdhsa_fp16_overflow 0
		.amdhsa_workgroup_processor_mode 1
		.amdhsa_memory_ordered 1
		.amdhsa_forward_progress 0
		.amdhsa_shared_vgpr_count 0
		.amdhsa_exception_fp_ieee_invalid_op 0
		.amdhsa_exception_fp_denorm_src 0
		.amdhsa_exception_fp_ieee_div_zero 0
		.amdhsa_exception_fp_ieee_overflow 0
		.amdhsa_exception_fp_ieee_underflow 0
		.amdhsa_exception_fp_ieee_inexact 0
		.amdhsa_exception_int_div_zero 0
	.end_amdhsa_kernel
	.section	.text._ZN9rocsparseL12axpyi_kernelILj256EfiDF16_DF16_EEvT1_NS_24const_host_device_scalarIT0_EEPKT2_PKS1_PT3_21rocsparse_index_base_b,"axG",@progbits,_ZN9rocsparseL12axpyi_kernelILj256EfiDF16_DF16_EEvT1_NS_24const_host_device_scalarIT0_EEPKT2_PKS1_PT3_21rocsparse_index_base_b,comdat
.Lfunc_end1:
	.size	_ZN9rocsparseL12axpyi_kernelILj256EfiDF16_DF16_EEvT1_NS_24const_host_device_scalarIT0_EEPKT2_PKS1_PT3_21rocsparse_index_base_b, .Lfunc_end1-_ZN9rocsparseL12axpyi_kernelILj256EfiDF16_DF16_EEvT1_NS_24const_host_device_scalarIT0_EEPKT2_PKS1_PT3_21rocsparse_index_base_b
                                        ; -- End function
	.section	.AMDGPU.csdata,"",@progbits
; Kernel info:
; codeLenInByte = 276
; NumSgprs: 18
; NumVgprs: 4
; ScratchSize: 0
; MemoryBound: 0
; FloatMode: 240
; IeeeMode: 1
; LDSByteSize: 0 bytes/workgroup (compile time only)
; SGPRBlocks: 2
; VGPRBlocks: 0
; NumSGPRsForWavesPerEU: 18
; NumVGPRsForWavesPerEU: 4
; Occupancy: 16
; WaveLimiterHint : 1
; COMPUTE_PGM_RSRC2:SCRATCH_EN: 0
; COMPUTE_PGM_RSRC2:USER_SGPR: 15
; COMPUTE_PGM_RSRC2:TRAP_HANDLER: 0
; COMPUTE_PGM_RSRC2:TGID_X_EN: 1
; COMPUTE_PGM_RSRC2:TGID_Y_EN: 0
; COMPUTE_PGM_RSRC2:TGID_Z_EN: 0
; COMPUTE_PGM_RSRC2:TIDIG_COMP_CNT: 0
	.section	.text._ZN9rocsparseL12axpyi_kernelILj256EfiffEEvT1_NS_24const_host_device_scalarIT0_EEPKT2_PKS1_PT3_21rocsparse_index_base_b,"axG",@progbits,_ZN9rocsparseL12axpyi_kernelILj256EfiffEEvT1_NS_24const_host_device_scalarIT0_EEPKT2_PKS1_PT3_21rocsparse_index_base_b,comdat
	.globl	_ZN9rocsparseL12axpyi_kernelILj256EfiffEEvT1_NS_24const_host_device_scalarIT0_EEPKT2_PKS1_PT3_21rocsparse_index_base_b ; -- Begin function _ZN9rocsparseL12axpyi_kernelILj256EfiffEEvT1_NS_24const_host_device_scalarIT0_EEPKT2_PKS1_PT3_21rocsparse_index_base_b
	.p2align	8
	.type	_ZN9rocsparseL12axpyi_kernelILj256EfiffEEvT1_NS_24const_host_device_scalarIT0_EEPKT2_PKS1_PT3_21rocsparse_index_base_b,@function
_ZN9rocsparseL12axpyi_kernelILj256EfiffEEvT1_NS_24const_host_device_scalarIT0_EEPKT2_PKS1_PT3_21rocsparse_index_base_b: ; @_ZN9rocsparseL12axpyi_kernelILj256EfiffEEvT1_NS_24const_host_device_scalarIT0_EEPKT2_PKS1_PT3_21rocsparse_index_base_b
; %bb.0:
	s_clause 0x1
	s_load_b64 s[4:5], s[0:1], 0x28
	s_load_b64 s[2:3], s[0:1], 0x8
	s_waitcnt lgkmcnt(0)
	s_bitcmp1_b32 s5, 0
	s_cselect_b32 s5, -1, 0
	s_delay_alu instid0(SALU_CYCLE_1)
	s_and_b32 vcc_lo, exec_lo, s5
	s_cbranch_vccnz .LBB2_2
; %bb.1:
	s_load_b32 s2, s[2:3], 0x0
.LBB2_2:
	s_load_b32 s3, s[0:1], 0x0
	v_lshl_or_b32 v0, s15, 8, v0
	s_waitcnt lgkmcnt(0)
	v_cmp_neq_f32_e64 s5, s2, 0
	s_delay_alu instid0(VALU_DEP_2) | instskip(NEXT) | instid1(VALU_DEP_2)
	v_cmp_gt_i32_e32 vcc_lo, s3, v0
	s_and_b32 s3, s5, vcc_lo
	s_delay_alu instid0(SALU_CYCLE_1)
	s_and_saveexec_b32 s5, s3
	s_cbranch_execz .LBB2_4
; %bb.3:
	s_load_b128 s[8:11], s[0:1], 0x10
	v_ashrrev_i32_e32 v1, 31, v0
	s_load_b64 s[0:1], s[0:1], 0x20
	s_delay_alu instid0(VALU_DEP_1) | instskip(SKIP_1) | instid1(VALU_DEP_1)
	v_lshlrev_b64 v[0:1], 2, v[0:1]
	s_waitcnt lgkmcnt(0)
	v_add_co_u32 v2, vcc_lo, s10, v0
	s_delay_alu instid0(VALU_DEP_2)
	v_add_co_ci_u32_e32 v3, vcc_lo, s11, v1, vcc_lo
	v_add_co_u32 v0, vcc_lo, s8, v0
	v_add_co_ci_u32_e32 v1, vcc_lo, s9, v1, vcc_lo
	global_load_b32 v2, v[2:3], off
	s_waitcnt vmcnt(0)
	v_subrev_nc_u32_e32 v2, s4, v2
	s_delay_alu instid0(VALU_DEP_1) | instskip(NEXT) | instid1(VALU_DEP_1)
	v_ashrrev_i32_e32 v3, 31, v2
	v_lshlrev_b64 v[2:3], 2, v[2:3]
	s_delay_alu instid0(VALU_DEP_1) | instskip(NEXT) | instid1(VALU_DEP_2)
	v_add_co_u32 v2, vcc_lo, s0, v2
	v_add_co_ci_u32_e32 v3, vcc_lo, s1, v3, vcc_lo
	global_load_b32 v0, v[0:1], off
	global_load_b32 v1, v[2:3], off
	s_waitcnt vmcnt(0)
	v_fmac_f32_e32 v1, s2, v0
	global_store_b32 v[2:3], v1, off
.LBB2_4:
	s_nop 0
	s_sendmsg sendmsg(MSG_DEALLOC_VGPRS)
	s_endpgm
	.section	.rodata,"a",@progbits
	.p2align	6, 0x0
	.amdhsa_kernel _ZN9rocsparseL12axpyi_kernelILj256EfiffEEvT1_NS_24const_host_device_scalarIT0_EEPKT2_PKS1_PT3_21rocsparse_index_base_b
		.amdhsa_group_segment_fixed_size 0
		.amdhsa_private_segment_fixed_size 0
		.amdhsa_kernarg_size 48
		.amdhsa_user_sgpr_count 15
		.amdhsa_user_sgpr_dispatch_ptr 0
		.amdhsa_user_sgpr_queue_ptr 0
		.amdhsa_user_sgpr_kernarg_segment_ptr 1
		.amdhsa_user_sgpr_dispatch_id 0
		.amdhsa_user_sgpr_private_segment_size 0
		.amdhsa_wavefront_size32 1
		.amdhsa_uses_dynamic_stack 0
		.amdhsa_enable_private_segment 0
		.amdhsa_system_sgpr_workgroup_id_x 1
		.amdhsa_system_sgpr_workgroup_id_y 0
		.amdhsa_system_sgpr_workgroup_id_z 0
		.amdhsa_system_sgpr_workgroup_info 0
		.amdhsa_system_vgpr_workitem_id 0
		.amdhsa_next_free_vgpr 4
		.amdhsa_next_free_sgpr 16
		.amdhsa_reserve_vcc 1
		.amdhsa_float_round_mode_32 0
		.amdhsa_float_round_mode_16_64 0
		.amdhsa_float_denorm_mode_32 3
		.amdhsa_float_denorm_mode_16_64 3
		.amdhsa_dx10_clamp 1
		.amdhsa_ieee_mode 1
		.amdhsa_fp16_overflow 0
		.amdhsa_workgroup_processor_mode 1
		.amdhsa_memory_ordered 1
		.amdhsa_forward_progress 0
		.amdhsa_shared_vgpr_count 0
		.amdhsa_exception_fp_ieee_invalid_op 0
		.amdhsa_exception_fp_denorm_src 0
		.amdhsa_exception_fp_ieee_div_zero 0
		.amdhsa_exception_fp_ieee_overflow 0
		.amdhsa_exception_fp_ieee_underflow 0
		.amdhsa_exception_fp_ieee_inexact 0
		.amdhsa_exception_int_div_zero 0
	.end_amdhsa_kernel
	.section	.text._ZN9rocsparseL12axpyi_kernelILj256EfiffEEvT1_NS_24const_host_device_scalarIT0_EEPKT2_PKS1_PT3_21rocsparse_index_base_b,"axG",@progbits,_ZN9rocsparseL12axpyi_kernelILj256EfiffEEvT1_NS_24const_host_device_scalarIT0_EEPKT2_PKS1_PT3_21rocsparse_index_base_b,comdat
.Lfunc_end2:
	.size	_ZN9rocsparseL12axpyi_kernelILj256EfiffEEvT1_NS_24const_host_device_scalarIT0_EEPKT2_PKS1_PT3_21rocsparse_index_base_b, .Lfunc_end2-_ZN9rocsparseL12axpyi_kernelILj256EfiffEEvT1_NS_24const_host_device_scalarIT0_EEPKT2_PKS1_PT3_21rocsparse_index_base_b
                                        ; -- End function
	.section	.AMDGPU.csdata,"",@progbits
; Kernel info:
; codeLenInByte = 260
; NumSgprs: 18
; NumVgprs: 4
; ScratchSize: 0
; MemoryBound: 0
; FloatMode: 240
; IeeeMode: 1
; LDSByteSize: 0 bytes/workgroup (compile time only)
; SGPRBlocks: 2
; VGPRBlocks: 0
; NumSGPRsForWavesPerEU: 18
; NumVGPRsForWavesPerEU: 4
; Occupancy: 16
; WaveLimiterHint : 1
; COMPUTE_PGM_RSRC2:SCRATCH_EN: 0
; COMPUTE_PGM_RSRC2:USER_SGPR: 15
; COMPUTE_PGM_RSRC2:TRAP_HANDLER: 0
; COMPUTE_PGM_RSRC2:TGID_X_EN: 1
; COMPUTE_PGM_RSRC2:TGID_Y_EN: 0
; COMPUTE_PGM_RSRC2:TGID_Z_EN: 0
; COMPUTE_PGM_RSRC2:TIDIG_COMP_CNT: 0
	.section	.text._ZN9rocsparseL12axpyi_kernelILj256EdiddEEvT1_NS_24const_host_device_scalarIT0_EEPKT2_PKS1_PT3_21rocsparse_index_base_b,"axG",@progbits,_ZN9rocsparseL12axpyi_kernelILj256EdiddEEvT1_NS_24const_host_device_scalarIT0_EEPKT2_PKS1_PT3_21rocsparse_index_base_b,comdat
	.globl	_ZN9rocsparseL12axpyi_kernelILj256EdiddEEvT1_NS_24const_host_device_scalarIT0_EEPKT2_PKS1_PT3_21rocsparse_index_base_b ; -- Begin function _ZN9rocsparseL12axpyi_kernelILj256EdiddEEvT1_NS_24const_host_device_scalarIT0_EEPKT2_PKS1_PT3_21rocsparse_index_base_b
	.p2align	8
	.type	_ZN9rocsparseL12axpyi_kernelILj256EdiddEEvT1_NS_24const_host_device_scalarIT0_EEPKT2_PKS1_PT3_21rocsparse_index_base_b,@function
_ZN9rocsparseL12axpyi_kernelILj256EdiddEEvT1_NS_24const_host_device_scalarIT0_EEPKT2_PKS1_PT3_21rocsparse_index_base_b: ; @_ZN9rocsparseL12axpyi_kernelILj256EdiddEEvT1_NS_24const_host_device_scalarIT0_EEPKT2_PKS1_PT3_21rocsparse_index_base_b
; %bb.0:
	s_clause 0x1
	s_load_b64 s[4:5], s[0:1], 0x28
	s_load_b64 s[2:3], s[0:1], 0x8
	s_waitcnt lgkmcnt(0)
	s_bitcmp1_b32 s5, 0
	v_dual_mov_b32 v1, s2 :: v_dual_mov_b32 v2, s3
	s_cselect_b32 s5, -1, 0
	s_delay_alu instid0(SALU_CYCLE_1)
	s_and_b32 vcc_lo, exec_lo, s5
	s_cbranch_vccnz .LBB3_2
; %bb.1:
	v_dual_mov_b32 v1, s2 :: v_dual_mov_b32 v2, s3
	flat_load_b64 v[1:2], v[1:2]
.LBB3_2:
	s_waitcnt vmcnt(0) lgkmcnt(0)
	v_cmp_neq_f64_e32 vcc_lo, 0, v[1:2]
	s_load_b32 s2, s[0:1], 0x0
	v_lshl_or_b32 v3, s15, 8, v0
	s_waitcnt lgkmcnt(0)
	s_delay_alu instid0(VALU_DEP_1) | instskip(NEXT) | instid1(VALU_DEP_1)
	v_cmp_gt_i32_e64 s2, s2, v3
	s_and_b32 s2, vcc_lo, s2
	s_delay_alu instid0(SALU_CYCLE_1)
	s_and_saveexec_b32 s3, s2
	s_cbranch_execz .LBB3_4
; %bb.3:
	s_load_b128 s[8:11], s[0:1], 0x10
	v_ashrrev_i32_e32 v4, 31, v3
	s_load_b64 s[0:1], s[0:1], 0x20
	s_delay_alu instid0(VALU_DEP_1) | instskip(SKIP_2) | instid1(VALU_DEP_2)
	v_lshlrev_b64 v[5:6], 2, v[3:4]
	v_lshlrev_b64 v[3:4], 3, v[3:4]
	s_waitcnt lgkmcnt(0)
	v_add_co_u32 v5, vcc_lo, s10, v5
	s_delay_alu instid0(VALU_DEP_3) | instskip(NEXT) | instid1(VALU_DEP_3)
	v_add_co_ci_u32_e32 v6, vcc_lo, s11, v6, vcc_lo
	v_add_co_u32 v3, vcc_lo, s8, v3
	s_delay_alu instid0(VALU_DEP_4) | instskip(SKIP_3) | instid1(VALU_DEP_1)
	v_add_co_ci_u32_e32 v4, vcc_lo, s9, v4, vcc_lo
	global_load_b32 v0, v[5:6], off
	s_waitcnt vmcnt(0)
	v_subrev_nc_u32_e32 v5, s4, v0
	v_ashrrev_i32_e32 v6, 31, v5
	s_delay_alu instid0(VALU_DEP_1) | instskip(NEXT) | instid1(VALU_DEP_1)
	v_lshlrev_b64 v[5:6], 3, v[5:6]
	v_add_co_u32 v5, vcc_lo, s0, v5
	s_delay_alu instid0(VALU_DEP_2)
	v_add_co_ci_u32_e32 v6, vcc_lo, s1, v6, vcc_lo
	global_load_b64 v[3:4], v[3:4], off
	global_load_b64 v[7:8], v[5:6], off
	s_waitcnt vmcnt(0)
	v_fma_f64 v[0:1], v[1:2], v[3:4], v[7:8]
	global_store_b64 v[5:6], v[0:1], off
.LBB3_4:
	s_nop 0
	s_sendmsg sendmsg(MSG_DEALLOC_VGPRS)
	s_endpgm
	.section	.rodata,"a",@progbits
	.p2align	6, 0x0
	.amdhsa_kernel _ZN9rocsparseL12axpyi_kernelILj256EdiddEEvT1_NS_24const_host_device_scalarIT0_EEPKT2_PKS1_PT3_21rocsparse_index_base_b
		.amdhsa_group_segment_fixed_size 0
		.amdhsa_private_segment_fixed_size 0
		.amdhsa_kernarg_size 48
		.amdhsa_user_sgpr_count 15
		.amdhsa_user_sgpr_dispatch_ptr 0
		.amdhsa_user_sgpr_queue_ptr 0
		.amdhsa_user_sgpr_kernarg_segment_ptr 1
		.amdhsa_user_sgpr_dispatch_id 0
		.amdhsa_user_sgpr_private_segment_size 0
		.amdhsa_wavefront_size32 1
		.amdhsa_uses_dynamic_stack 0
		.amdhsa_enable_private_segment 0
		.amdhsa_system_sgpr_workgroup_id_x 1
		.amdhsa_system_sgpr_workgroup_id_y 0
		.amdhsa_system_sgpr_workgroup_id_z 0
		.amdhsa_system_sgpr_workgroup_info 0
		.amdhsa_system_vgpr_workitem_id 0
		.amdhsa_next_free_vgpr 9
		.amdhsa_next_free_sgpr 16
		.amdhsa_reserve_vcc 1
		.amdhsa_float_round_mode_32 0
		.amdhsa_float_round_mode_16_64 0
		.amdhsa_float_denorm_mode_32 3
		.amdhsa_float_denorm_mode_16_64 3
		.amdhsa_dx10_clamp 1
		.amdhsa_ieee_mode 1
		.amdhsa_fp16_overflow 0
		.amdhsa_workgroup_processor_mode 1
		.amdhsa_memory_ordered 1
		.amdhsa_forward_progress 0
		.amdhsa_shared_vgpr_count 0
		.amdhsa_exception_fp_ieee_invalid_op 0
		.amdhsa_exception_fp_denorm_src 0
		.amdhsa_exception_fp_ieee_div_zero 0
		.amdhsa_exception_fp_ieee_overflow 0
		.amdhsa_exception_fp_ieee_underflow 0
		.amdhsa_exception_fp_ieee_inexact 0
		.amdhsa_exception_int_div_zero 0
	.end_amdhsa_kernel
	.section	.text._ZN9rocsparseL12axpyi_kernelILj256EdiddEEvT1_NS_24const_host_device_scalarIT0_EEPKT2_PKS1_PT3_21rocsparse_index_base_b,"axG",@progbits,_ZN9rocsparseL12axpyi_kernelILj256EdiddEEvT1_NS_24const_host_device_scalarIT0_EEPKT2_PKS1_PT3_21rocsparse_index_base_b,comdat
.Lfunc_end3:
	.size	_ZN9rocsparseL12axpyi_kernelILj256EdiddEEvT1_NS_24const_host_device_scalarIT0_EEPKT2_PKS1_PT3_21rocsparse_index_base_b, .Lfunc_end3-_ZN9rocsparseL12axpyi_kernelILj256EdiddEEvT1_NS_24const_host_device_scalarIT0_EEPKT2_PKS1_PT3_21rocsparse_index_base_b
                                        ; -- End function
	.section	.AMDGPU.csdata,"",@progbits
; Kernel info:
; codeLenInByte = 296
; NumSgprs: 18
; NumVgprs: 9
; ScratchSize: 0
; MemoryBound: 0
; FloatMode: 240
; IeeeMode: 1
; LDSByteSize: 0 bytes/workgroup (compile time only)
; SGPRBlocks: 2
; VGPRBlocks: 1
; NumSGPRsForWavesPerEU: 18
; NumVGPRsForWavesPerEU: 9
; Occupancy: 16
; WaveLimiterHint : 1
; COMPUTE_PGM_RSRC2:SCRATCH_EN: 0
; COMPUTE_PGM_RSRC2:USER_SGPR: 15
; COMPUTE_PGM_RSRC2:TRAP_HANDLER: 0
; COMPUTE_PGM_RSRC2:TGID_X_EN: 1
; COMPUTE_PGM_RSRC2:TGID_Y_EN: 0
; COMPUTE_PGM_RSRC2:TGID_Z_EN: 0
; COMPUTE_PGM_RSRC2:TIDIG_COMP_CNT: 0
	.section	.text._ZN9rocsparseL12axpyi_kernelILj256E21rocsparse_complex_numIfEiS2_S2_EEvT1_NS_24const_host_device_scalarIT0_EEPKT2_PKS3_PT3_21rocsparse_index_base_b,"axG",@progbits,_ZN9rocsparseL12axpyi_kernelILj256E21rocsparse_complex_numIfEiS2_S2_EEvT1_NS_24const_host_device_scalarIT0_EEPKT2_PKS3_PT3_21rocsparse_index_base_b,comdat
	.globl	_ZN9rocsparseL12axpyi_kernelILj256E21rocsparse_complex_numIfEiS2_S2_EEvT1_NS_24const_host_device_scalarIT0_EEPKT2_PKS3_PT3_21rocsparse_index_base_b ; -- Begin function _ZN9rocsparseL12axpyi_kernelILj256E21rocsparse_complex_numIfEiS2_S2_EEvT1_NS_24const_host_device_scalarIT0_EEPKT2_PKS3_PT3_21rocsparse_index_base_b
	.p2align	8
	.type	_ZN9rocsparseL12axpyi_kernelILj256E21rocsparse_complex_numIfEiS2_S2_EEvT1_NS_24const_host_device_scalarIT0_EEPKT2_PKS3_PT3_21rocsparse_index_base_b,@function
_ZN9rocsparseL12axpyi_kernelILj256E21rocsparse_complex_numIfEiS2_S2_EEvT1_NS_24const_host_device_scalarIT0_EEPKT2_PKS3_PT3_21rocsparse_index_base_b: ; @_ZN9rocsparseL12axpyi_kernelILj256E21rocsparse_complex_numIfEiS2_S2_EEvT1_NS_24const_host_device_scalarIT0_EEPKT2_PKS3_PT3_21rocsparse_index_base_b
; %bb.0:
	s_clause 0x1
	s_load_b64 s[4:5], s[0:1], 0x28
	s_load_b64 s[2:3], s[0:1], 0x8
	s_waitcnt lgkmcnt(0)
	s_bitcmp1_b32 s5, 0
	v_mov_b32_e32 v2, s2
	s_cselect_b32 s5, -1, 0
	s_delay_alu instid0(SALU_CYCLE_1)
	s_and_b32 vcc_lo, exec_lo, s5
	s_xor_b32 s5, s5, -1
	s_cbranch_vccnz .LBB4_2
; %bb.1:
	v_dual_mov_b32 v1, s2 :: v_dual_mov_b32 v2, s3
	flat_load_b32 v2, v[1:2]
.LBB4_2:
	v_mov_b32_e32 v3, s3
	s_and_not1_b32 vcc_lo, exec_lo, s5
	s_cbranch_vccnz .LBB4_4
; %bb.3:
	v_dual_mov_b32 v4, s3 :: v_dual_mov_b32 v3, s2
	flat_load_b32 v3, v[3:4] offset:4
.LBB4_4:
	s_load_b32 s3, s[0:1], 0x0
	v_lshl_or_b32 v0, s15, 8, v0
	s_waitcnt vmcnt(0) lgkmcnt(0)
	v_cmp_neq_f32_e32 vcc_lo, 0, v2
	v_cmp_neq_f32_e64 s2, 0, v3
	s_delay_alu instid0(VALU_DEP_1) | instskip(SKIP_1) | instid1(VALU_DEP_1)
	s_or_b32 s2, vcc_lo, s2
	v_cmp_gt_i32_e64 s3, s3, v0
	s_and_b32 s2, s2, s3
	s_delay_alu instid0(SALU_CYCLE_1)
	s_and_saveexec_b32 s3, s2
	s_cbranch_execz .LBB4_6
; %bb.5:
	s_load_b128 s[8:11], s[0:1], 0x10
	v_ashrrev_i32_e32 v1, 31, v0
	s_load_b64 s[0:1], s[0:1], 0x20
	s_delay_alu instid0(VALU_DEP_1) | instskip(SKIP_2) | instid1(VALU_DEP_2)
	v_lshlrev_b64 v[4:5], 2, v[0:1]
	v_lshlrev_b64 v[0:1], 3, v[0:1]
	s_waitcnt lgkmcnt(0)
	v_add_co_u32 v4, vcc_lo, s10, v4
	s_delay_alu instid0(VALU_DEP_3) | instskip(NEXT) | instid1(VALU_DEP_3)
	v_add_co_ci_u32_e32 v5, vcc_lo, s11, v5, vcc_lo
	v_add_co_u32 v0, vcc_lo, s8, v0
	s_delay_alu instid0(VALU_DEP_4) | instskip(SKIP_3) | instid1(VALU_DEP_1)
	v_add_co_ci_u32_e32 v1, vcc_lo, s9, v1, vcc_lo
	global_load_b32 v4, v[4:5], off
	s_waitcnt vmcnt(0)
	v_subrev_nc_u32_e32 v4, s4, v4
	v_ashrrev_i32_e32 v5, 31, v4
	s_delay_alu instid0(VALU_DEP_1) | instskip(NEXT) | instid1(VALU_DEP_1)
	v_lshlrev_b64 v[4:5], 3, v[4:5]
	v_add_co_u32 v4, vcc_lo, s0, v4
	s_delay_alu instid0(VALU_DEP_2)
	v_add_co_ci_u32_e32 v5, vcc_lo, s1, v5, vcc_lo
	global_load_b64 v[0:1], v[0:1], off
	global_load_b64 v[6:7], v[4:5], off
	s_waitcnt vmcnt(0)
	v_fma_f32 v6, v2, v0, v6
	v_fmac_f32_e32 v7, v3, v0
	s_delay_alu instid0(VALU_DEP_2) | instskip(NEXT) | instid1(VALU_DEP_2)
	v_fma_f32 v6, -v3, v1, v6
	v_fmac_f32_e32 v7, v2, v1
	global_store_b64 v[4:5], v[6:7], off
.LBB4_6:
	s_nop 0
	s_sendmsg sendmsg(MSG_DEALLOC_VGPRS)
	s_endpgm
	.section	.rodata,"a",@progbits
	.p2align	6, 0x0
	.amdhsa_kernel _ZN9rocsparseL12axpyi_kernelILj256E21rocsparse_complex_numIfEiS2_S2_EEvT1_NS_24const_host_device_scalarIT0_EEPKT2_PKS3_PT3_21rocsparse_index_base_b
		.amdhsa_group_segment_fixed_size 0
		.amdhsa_private_segment_fixed_size 0
		.amdhsa_kernarg_size 48
		.amdhsa_user_sgpr_count 15
		.amdhsa_user_sgpr_dispatch_ptr 0
		.amdhsa_user_sgpr_queue_ptr 0
		.amdhsa_user_sgpr_kernarg_segment_ptr 1
		.amdhsa_user_sgpr_dispatch_id 0
		.amdhsa_user_sgpr_private_segment_size 0
		.amdhsa_wavefront_size32 1
		.amdhsa_uses_dynamic_stack 0
		.amdhsa_enable_private_segment 0
		.amdhsa_system_sgpr_workgroup_id_x 1
		.amdhsa_system_sgpr_workgroup_id_y 0
		.amdhsa_system_sgpr_workgroup_id_z 0
		.amdhsa_system_sgpr_workgroup_info 0
		.amdhsa_system_vgpr_workitem_id 0
		.amdhsa_next_free_vgpr 8
		.amdhsa_next_free_sgpr 16
		.amdhsa_reserve_vcc 1
		.amdhsa_float_round_mode_32 0
		.amdhsa_float_round_mode_16_64 0
		.amdhsa_float_denorm_mode_32 3
		.amdhsa_float_denorm_mode_16_64 3
		.amdhsa_dx10_clamp 1
		.amdhsa_ieee_mode 1
		.amdhsa_fp16_overflow 0
		.amdhsa_workgroup_processor_mode 1
		.amdhsa_memory_ordered 1
		.amdhsa_forward_progress 0
		.amdhsa_shared_vgpr_count 0
		.amdhsa_exception_fp_ieee_invalid_op 0
		.amdhsa_exception_fp_denorm_src 0
		.amdhsa_exception_fp_ieee_div_zero 0
		.amdhsa_exception_fp_ieee_overflow 0
		.amdhsa_exception_fp_ieee_underflow 0
		.amdhsa_exception_fp_ieee_inexact 0
		.amdhsa_exception_int_div_zero 0
	.end_amdhsa_kernel
	.section	.text._ZN9rocsparseL12axpyi_kernelILj256E21rocsparse_complex_numIfEiS2_S2_EEvT1_NS_24const_host_device_scalarIT0_EEPKT2_PKS3_PT3_21rocsparse_index_base_b,"axG",@progbits,_ZN9rocsparseL12axpyi_kernelILj256E21rocsparse_complex_numIfEiS2_S2_EEvT1_NS_24const_host_device_scalarIT0_EEPKT2_PKS3_PT3_21rocsparse_index_base_b,comdat
.Lfunc_end4:
	.size	_ZN9rocsparseL12axpyi_kernelILj256E21rocsparse_complex_numIfEiS2_S2_EEvT1_NS_24const_host_device_scalarIT0_EEPKT2_PKS3_PT3_21rocsparse_index_base_b, .Lfunc_end4-_ZN9rocsparseL12axpyi_kernelILj256E21rocsparse_complex_numIfEiS2_S2_EEvT1_NS_24const_host_device_scalarIT0_EEPKT2_PKS3_PT3_21rocsparse_index_base_b
                                        ; -- End function
	.section	.AMDGPU.csdata,"",@progbits
; Kernel info:
; codeLenInByte = 352
; NumSgprs: 18
; NumVgprs: 8
; ScratchSize: 0
; MemoryBound: 0
; FloatMode: 240
; IeeeMode: 1
; LDSByteSize: 0 bytes/workgroup (compile time only)
; SGPRBlocks: 2
; VGPRBlocks: 0
; NumSGPRsForWavesPerEU: 18
; NumVGPRsForWavesPerEU: 8
; Occupancy: 16
; WaveLimiterHint : 1
; COMPUTE_PGM_RSRC2:SCRATCH_EN: 0
; COMPUTE_PGM_RSRC2:USER_SGPR: 15
; COMPUTE_PGM_RSRC2:TRAP_HANDLER: 0
; COMPUTE_PGM_RSRC2:TGID_X_EN: 1
; COMPUTE_PGM_RSRC2:TGID_Y_EN: 0
; COMPUTE_PGM_RSRC2:TGID_Z_EN: 0
; COMPUTE_PGM_RSRC2:TIDIG_COMP_CNT: 0
	.section	.text._ZN9rocsparseL12axpyi_kernelILj256E21rocsparse_complex_numIdEiS2_S2_EEvT1_NS_24const_host_device_scalarIT0_EEPKT2_PKS3_PT3_21rocsparse_index_base_b,"axG",@progbits,_ZN9rocsparseL12axpyi_kernelILj256E21rocsparse_complex_numIdEiS2_S2_EEvT1_NS_24const_host_device_scalarIT0_EEPKT2_PKS3_PT3_21rocsparse_index_base_b,comdat
	.globl	_ZN9rocsparseL12axpyi_kernelILj256E21rocsparse_complex_numIdEiS2_S2_EEvT1_NS_24const_host_device_scalarIT0_EEPKT2_PKS3_PT3_21rocsparse_index_base_b ; -- Begin function _ZN9rocsparseL12axpyi_kernelILj256E21rocsparse_complex_numIdEiS2_S2_EEvT1_NS_24const_host_device_scalarIT0_EEPKT2_PKS3_PT3_21rocsparse_index_base_b
	.p2align	8
	.type	_ZN9rocsparseL12axpyi_kernelILj256E21rocsparse_complex_numIdEiS2_S2_EEvT1_NS_24const_host_device_scalarIT0_EEPKT2_PKS3_PT3_21rocsparse_index_base_b,@function
_ZN9rocsparseL12axpyi_kernelILj256E21rocsparse_complex_numIdEiS2_S2_EEvT1_NS_24const_host_device_scalarIT0_EEPKT2_PKS3_PT3_21rocsparse_index_base_b: ; @_ZN9rocsparseL12axpyi_kernelILj256E21rocsparse_complex_numIdEiS2_S2_EEvT1_NS_24const_host_device_scalarIT0_EEPKT2_PKS3_PT3_21rocsparse_index_base_b
; %bb.0:
	s_load_b64 s[0:1], s[0:1], 0x4
	s_clause 0x1
	s_load_b64 s[8:9], s[2:3], 0x30
	s_load_b128 s[4:7], s[2:3], 0x8
	v_and_b32_e32 v4, 0x3ff, v0
	v_bfe_u32 v2, v0, 10, 10
	v_bfe_u32 v0, v0, 20, 10
	s_waitcnt lgkmcnt(0)
	s_lshr_b32 s0, s0, 16
	s_delay_alu instid0(SALU_CYCLE_1) | instskip(NEXT) | instid1(SALU_CYCLE_1)
	s_mul_i32 s0, s0, s1
	v_mul_lo_u32 v1, s0, v4
	s_and_b32 s0, 1, s9
	s_delay_alu instid0(SALU_CYCLE_1) | instskip(SKIP_1) | instid1(VALU_DEP_1)
	s_cmp_eq_u32 s0, 1
	s_cselect_b32 vcc_lo, -1, 0
	v_mad_u32_u24 v1, v2, s1, v1
	s_mov_b64 s[0:1], src_shared_base
	s_delay_alu instid0(VALU_DEP_1) | instskip(NEXT) | instid1(VALU_DEP_1)
	v_add_lshl_u32 v5, v1, v0, 3
	v_cndmask_b32_e32 v0, s4, v5, vcc_lo
	s_and_b32 vcc_lo, vcc_lo, exec_lo
	s_cselect_b32 s0, s1, s5
	s_delay_alu instid0(SALU_CYCLE_1)
	v_dual_mov_b32 v2, s4 :: v_dual_mov_b32 v1, s0
	v_mov_b32_e32 v3, s5
	ds_store_b64 v5, v[2:3]
	flat_load_b64 v[0:1], v[0:1]
	v_dual_mov_b32 v2, s6 :: v_dual_mov_b32 v3, s7
	s_cbranch_vccnz .LBB5_2
; %bb.1:
	v_dual_mov_b32 v2, s4 :: v_dual_mov_b32 v3, s5
	flat_load_b64 v[2:3], v[2:3] offset:8
.LBB5_2:
	s_waitcnt vmcnt(0) lgkmcnt(0)
	v_cmp_neq_f64_e32 vcc_lo, 0, v[0:1]
	s_delay_alu instid0(VALU_DEP_2) | instskip(SKIP_3) | instid1(VALU_DEP_1)
	v_cmp_neq_f64_e64 s0, 0, v[2:3]
	s_load_b32 s1, s[2:3], 0x0
	v_lshl_or_b32 v4, s15, 8, v4
	s_waitcnt lgkmcnt(0)
	v_cmp_gt_i32_e64 s1, s1, v4
	s_delay_alu instid0(VALU_DEP_3)
	s_or_b32 s0, vcc_lo, s0
	s_delay_alu instid0(VALU_DEP_1) | instid1(SALU_CYCLE_1)
	s_and_b32 s0, s0, s1
	s_delay_alu instid0(SALU_CYCLE_1)
	s_and_saveexec_b32 s1, s0
	s_cbranch_execz .LBB5_4
; %bb.3:
	s_clause 0x1
	s_load_b128 s[4:7], s[2:3], 0x18
	s_load_b64 s[0:1], s[2:3], 0x28
	v_ashrrev_i32_e32 v5, 31, v4
	s_delay_alu instid0(VALU_DEP_1) | instskip(SKIP_2) | instid1(VALU_DEP_2)
	v_lshlrev_b64 v[6:7], 2, v[4:5]
	v_lshlrev_b64 v[4:5], 4, v[4:5]
	s_waitcnt lgkmcnt(0)
	v_add_co_u32 v6, vcc_lo, s6, v6
	s_delay_alu instid0(VALU_DEP_3) | instskip(NEXT) | instid1(VALU_DEP_3)
	v_add_co_ci_u32_e32 v7, vcc_lo, s7, v7, vcc_lo
	v_add_co_u32 v4, vcc_lo, s4, v4
	s_delay_alu instid0(VALU_DEP_4) | instskip(SKIP_3) | instid1(VALU_DEP_1)
	v_add_co_ci_u32_e32 v5, vcc_lo, s5, v5, vcc_lo
	global_load_b32 v6, v[6:7], off
	s_waitcnt vmcnt(0)
	v_subrev_nc_u32_e32 v6, s8, v6
	v_ashrrev_i32_e32 v7, 31, v6
	s_delay_alu instid0(VALU_DEP_1) | instskip(NEXT) | instid1(VALU_DEP_1)
	v_lshlrev_b64 v[6:7], 4, v[6:7]
	v_add_co_u32 v12, vcc_lo, s0, v6
	s_delay_alu instid0(VALU_DEP_2)
	v_add_co_ci_u32_e32 v13, vcc_lo, s1, v7, vcc_lo
	global_load_b128 v[4:7], v[4:5], off
	global_load_b128 v[8:11], v[12:13], off
	s_waitcnt vmcnt(0)
	v_fma_f64 v[8:9], v[0:1], v[4:5], v[8:9]
	v_fma_f64 v[4:5], v[2:3], v[4:5], v[10:11]
	s_delay_alu instid0(VALU_DEP_2) | instskip(NEXT) | instid1(VALU_DEP_2)
	v_fma_f64 v[2:3], -v[2:3], v[6:7], v[8:9]
	v_fma_f64 v[4:5], v[0:1], v[6:7], v[4:5]
	global_store_b128 v[12:13], v[2:5], off
.LBB5_4:
	s_nop 0
	s_sendmsg sendmsg(MSG_DEALLOC_VGPRS)
	s_endpgm
	.section	.rodata,"a",@progbits
	.p2align	6, 0x0
	.amdhsa_kernel _ZN9rocsparseL12axpyi_kernelILj256E21rocsparse_complex_numIdEiS2_S2_EEvT1_NS_24const_host_device_scalarIT0_EEPKT2_PKS3_PT3_21rocsparse_index_base_b
		.amdhsa_group_segment_fixed_size 2048
		.amdhsa_private_segment_fixed_size 0
		.amdhsa_kernarg_size 56
		.amdhsa_user_sgpr_count 15
		.amdhsa_user_sgpr_dispatch_ptr 1
		.amdhsa_user_sgpr_queue_ptr 0
		.amdhsa_user_sgpr_kernarg_segment_ptr 1
		.amdhsa_user_sgpr_dispatch_id 0
		.amdhsa_user_sgpr_private_segment_size 0
		.amdhsa_wavefront_size32 1
		.amdhsa_uses_dynamic_stack 0
		.amdhsa_enable_private_segment 0
		.amdhsa_system_sgpr_workgroup_id_x 1
		.amdhsa_system_sgpr_workgroup_id_y 0
		.amdhsa_system_sgpr_workgroup_id_z 0
		.amdhsa_system_sgpr_workgroup_info 0
		.amdhsa_system_vgpr_workitem_id 2
		.amdhsa_next_free_vgpr 14
		.amdhsa_next_free_sgpr 16
		.amdhsa_reserve_vcc 1
		.amdhsa_float_round_mode_32 0
		.amdhsa_float_round_mode_16_64 0
		.amdhsa_float_denorm_mode_32 3
		.amdhsa_float_denorm_mode_16_64 3
		.amdhsa_dx10_clamp 1
		.amdhsa_ieee_mode 1
		.amdhsa_fp16_overflow 0
		.amdhsa_workgroup_processor_mode 1
		.amdhsa_memory_ordered 1
		.amdhsa_forward_progress 0
		.amdhsa_shared_vgpr_count 0
		.amdhsa_exception_fp_ieee_invalid_op 0
		.amdhsa_exception_fp_denorm_src 0
		.amdhsa_exception_fp_ieee_div_zero 0
		.amdhsa_exception_fp_ieee_overflow 0
		.amdhsa_exception_fp_ieee_underflow 0
		.amdhsa_exception_fp_ieee_inexact 0
		.amdhsa_exception_int_div_zero 0
	.end_amdhsa_kernel
	.section	.text._ZN9rocsparseL12axpyi_kernelILj256E21rocsparse_complex_numIdEiS2_S2_EEvT1_NS_24const_host_device_scalarIT0_EEPKT2_PKS3_PT3_21rocsparse_index_base_b,"axG",@progbits,_ZN9rocsparseL12axpyi_kernelILj256E21rocsparse_complex_numIdEiS2_S2_EEvT1_NS_24const_host_device_scalarIT0_EEPKT2_PKS3_PT3_21rocsparse_index_base_b,comdat
.Lfunc_end5:
	.size	_ZN9rocsparseL12axpyi_kernelILj256E21rocsparse_complex_numIdEiS2_S2_EEvT1_NS_24const_host_device_scalarIT0_EEPKT2_PKS3_PT3_21rocsparse_index_base_b, .Lfunc_end5-_ZN9rocsparseL12axpyi_kernelILj256E21rocsparse_complex_numIdEiS2_S2_EEvT1_NS_24const_host_device_scalarIT0_EEPKT2_PKS3_PT3_21rocsparse_index_base_b
                                        ; -- End function
	.section	.AMDGPU.csdata,"",@progbits
; Kernel info:
; codeLenInByte = 468
; NumSgprs: 18
; NumVgprs: 14
; ScratchSize: 0
; MemoryBound: 0
; FloatMode: 240
; IeeeMode: 1
; LDSByteSize: 2048 bytes/workgroup (compile time only)
; SGPRBlocks: 2
; VGPRBlocks: 1
; NumSGPRsForWavesPerEU: 18
; NumVGPRsForWavesPerEU: 14
; Occupancy: 16
; WaveLimiterHint : 1
; COMPUTE_PGM_RSRC2:SCRATCH_EN: 0
; COMPUTE_PGM_RSRC2:USER_SGPR: 15
; COMPUTE_PGM_RSRC2:TRAP_HANDLER: 0
; COMPUTE_PGM_RSRC2:TGID_X_EN: 1
; COMPUTE_PGM_RSRC2:TGID_Y_EN: 0
; COMPUTE_PGM_RSRC2:TGID_Z_EN: 0
; COMPUTE_PGM_RSRC2:TIDIG_COMP_CNT: 2
	.section	.text._ZN9rocsparseL12axpyi_kernelILj256Efl18rocsparse_bfloat16S1_EEvT1_NS_24const_host_device_scalarIT0_EEPKT2_PKS2_PT3_21rocsparse_index_base_b,"axG",@progbits,_ZN9rocsparseL12axpyi_kernelILj256Efl18rocsparse_bfloat16S1_EEvT1_NS_24const_host_device_scalarIT0_EEPKT2_PKS2_PT3_21rocsparse_index_base_b,comdat
	.globl	_ZN9rocsparseL12axpyi_kernelILj256Efl18rocsparse_bfloat16S1_EEvT1_NS_24const_host_device_scalarIT0_EEPKT2_PKS2_PT3_21rocsparse_index_base_b ; -- Begin function _ZN9rocsparseL12axpyi_kernelILj256Efl18rocsparse_bfloat16S1_EEvT1_NS_24const_host_device_scalarIT0_EEPKT2_PKS2_PT3_21rocsparse_index_base_b
	.p2align	8
	.type	_ZN9rocsparseL12axpyi_kernelILj256Efl18rocsparse_bfloat16S1_EEvT1_NS_24const_host_device_scalarIT0_EEPKT2_PKS2_PT3_21rocsparse_index_base_b,@function
_ZN9rocsparseL12axpyi_kernelILj256Efl18rocsparse_bfloat16S1_EEvT1_NS_24const_host_device_scalarIT0_EEPKT2_PKS2_PT3_21rocsparse_index_base_b: ; @_ZN9rocsparseL12axpyi_kernelILj256Efl18rocsparse_bfloat16S1_EEvT1_NS_24const_host_device_scalarIT0_EEPKT2_PKS2_PT3_21rocsparse_index_base_b
; %bb.0:
	s_endpgm
	.section	.rodata,"a",@progbits
	.p2align	6, 0x0
	.amdhsa_kernel _ZN9rocsparseL12axpyi_kernelILj256Efl18rocsparse_bfloat16S1_EEvT1_NS_24const_host_device_scalarIT0_EEPKT2_PKS2_PT3_21rocsparse_index_base_b
		.amdhsa_group_segment_fixed_size 0
		.amdhsa_private_segment_fixed_size 0
		.amdhsa_kernarg_size 48
		.amdhsa_user_sgpr_count 15
		.amdhsa_user_sgpr_dispatch_ptr 0
		.amdhsa_user_sgpr_queue_ptr 0
		.amdhsa_user_sgpr_kernarg_segment_ptr 1
		.amdhsa_user_sgpr_dispatch_id 0
		.amdhsa_user_sgpr_private_segment_size 0
		.amdhsa_wavefront_size32 1
		.amdhsa_uses_dynamic_stack 0
		.amdhsa_enable_private_segment 0
		.amdhsa_system_sgpr_workgroup_id_x 1
		.amdhsa_system_sgpr_workgroup_id_y 0
		.amdhsa_system_sgpr_workgroup_id_z 0
		.amdhsa_system_sgpr_workgroup_info 0
		.amdhsa_system_vgpr_workitem_id 0
		.amdhsa_next_free_vgpr 1
		.amdhsa_next_free_sgpr 1
		.amdhsa_reserve_vcc 0
		.amdhsa_float_round_mode_32 0
		.amdhsa_float_round_mode_16_64 0
		.amdhsa_float_denorm_mode_32 3
		.amdhsa_float_denorm_mode_16_64 3
		.amdhsa_dx10_clamp 1
		.amdhsa_ieee_mode 1
		.amdhsa_fp16_overflow 0
		.amdhsa_workgroup_processor_mode 1
		.amdhsa_memory_ordered 1
		.amdhsa_forward_progress 0
		.amdhsa_shared_vgpr_count 0
		.amdhsa_exception_fp_ieee_invalid_op 0
		.amdhsa_exception_fp_denorm_src 0
		.amdhsa_exception_fp_ieee_div_zero 0
		.amdhsa_exception_fp_ieee_overflow 0
		.amdhsa_exception_fp_ieee_underflow 0
		.amdhsa_exception_fp_ieee_inexact 0
		.amdhsa_exception_int_div_zero 0
	.end_amdhsa_kernel
	.section	.text._ZN9rocsparseL12axpyi_kernelILj256Efl18rocsparse_bfloat16S1_EEvT1_NS_24const_host_device_scalarIT0_EEPKT2_PKS2_PT3_21rocsparse_index_base_b,"axG",@progbits,_ZN9rocsparseL12axpyi_kernelILj256Efl18rocsparse_bfloat16S1_EEvT1_NS_24const_host_device_scalarIT0_EEPKT2_PKS2_PT3_21rocsparse_index_base_b,comdat
.Lfunc_end6:
	.size	_ZN9rocsparseL12axpyi_kernelILj256Efl18rocsparse_bfloat16S1_EEvT1_NS_24const_host_device_scalarIT0_EEPKT2_PKS2_PT3_21rocsparse_index_base_b, .Lfunc_end6-_ZN9rocsparseL12axpyi_kernelILj256Efl18rocsparse_bfloat16S1_EEvT1_NS_24const_host_device_scalarIT0_EEPKT2_PKS2_PT3_21rocsparse_index_base_b
                                        ; -- End function
	.section	.AMDGPU.csdata,"",@progbits
; Kernel info:
; codeLenInByte = 4
; NumSgprs: 0
; NumVgprs: 0
; ScratchSize: 0
; MemoryBound: 0
; FloatMode: 240
; IeeeMode: 1
; LDSByteSize: 0 bytes/workgroup (compile time only)
; SGPRBlocks: 0
; VGPRBlocks: 0
; NumSGPRsForWavesPerEU: 1
; NumVGPRsForWavesPerEU: 1
; Occupancy: 16
; WaveLimiterHint : 0
; COMPUTE_PGM_RSRC2:SCRATCH_EN: 0
; COMPUTE_PGM_RSRC2:USER_SGPR: 15
; COMPUTE_PGM_RSRC2:TRAP_HANDLER: 0
; COMPUTE_PGM_RSRC2:TGID_X_EN: 1
; COMPUTE_PGM_RSRC2:TGID_Y_EN: 0
; COMPUTE_PGM_RSRC2:TGID_Z_EN: 0
; COMPUTE_PGM_RSRC2:TIDIG_COMP_CNT: 0
	.section	.text._ZN9rocsparseL12axpyi_kernelILj256EflDF16_DF16_EEvT1_NS_24const_host_device_scalarIT0_EEPKT2_PKS1_PT3_21rocsparse_index_base_b,"axG",@progbits,_ZN9rocsparseL12axpyi_kernelILj256EflDF16_DF16_EEvT1_NS_24const_host_device_scalarIT0_EEPKT2_PKS1_PT3_21rocsparse_index_base_b,comdat
	.globl	_ZN9rocsparseL12axpyi_kernelILj256EflDF16_DF16_EEvT1_NS_24const_host_device_scalarIT0_EEPKT2_PKS1_PT3_21rocsparse_index_base_b ; -- Begin function _ZN9rocsparseL12axpyi_kernelILj256EflDF16_DF16_EEvT1_NS_24const_host_device_scalarIT0_EEPKT2_PKS1_PT3_21rocsparse_index_base_b
	.p2align	8
	.type	_ZN9rocsparseL12axpyi_kernelILj256EflDF16_DF16_EEvT1_NS_24const_host_device_scalarIT0_EEPKT2_PKS1_PT3_21rocsparse_index_base_b,@function
_ZN9rocsparseL12axpyi_kernelILj256EflDF16_DF16_EEvT1_NS_24const_host_device_scalarIT0_EEPKT2_PKS1_PT3_21rocsparse_index_base_b: ; @_ZN9rocsparseL12axpyi_kernelILj256EflDF16_DF16_EEvT1_NS_24const_host_device_scalarIT0_EEPKT2_PKS1_PT3_21rocsparse_index_base_b
; %bb.0:
	s_clause 0x1
	s_load_b64 s[2:3], s[0:1], 0x28
	s_load_b128 s[4:7], s[0:1], 0x0
	s_waitcnt lgkmcnt(0)
	s_bitcmp1_b32 s3, 0
	s_cselect_b32 s3, -1, 0
	s_delay_alu instid0(SALU_CYCLE_1)
	s_and_b32 vcc_lo, exec_lo, s3
	s_cbranch_vccnz .LBB7_2
; %bb.1:
	s_load_b32 s6, s[6:7], 0x0
.LBB7_2:
	v_lshl_or_b32 v0, s15, 8, v0
	v_mov_b32_e32 v1, 0
	s_waitcnt lgkmcnt(0)
	v_cmp_neq_f32_e64 s3, s6, 0
	s_delay_alu instid0(VALU_DEP_2) | instskip(NEXT) | instid1(VALU_DEP_2)
	v_cmp_gt_i64_e32 vcc_lo, s[4:5], v[0:1]
	s_and_b32 s3, s3, vcc_lo
	s_delay_alu instid0(SALU_CYCLE_1)
	s_and_saveexec_b32 s4, s3
	s_cbranch_execz .LBB7_4
; %bb.3:
	s_load_b128 s[8:11], s[0:1], 0x10
	v_lshlrev_b64 v[2:3], 3, v[0:1]
	s_load_b64 s[0:1], s[0:1], 0x20
	v_lshlrev_b64 v[0:1], 1, v[0:1]
	s_waitcnt lgkmcnt(0)
	s_delay_alu instid0(VALU_DEP_2) | instskip(NEXT) | instid1(VALU_DEP_3)
	v_add_co_u32 v2, vcc_lo, s10, v2
	v_add_co_ci_u32_e32 v3, vcc_lo, s11, v3, vcc_lo
	global_load_b64 v[2:3], v[2:3], off
	s_waitcnt vmcnt(0)
	v_sub_co_u32 v2, vcc_lo, v2, s2
	v_subrev_co_ci_u32_e32 v3, vcc_lo, 0, v3, vcc_lo
	v_add_co_u32 v0, vcc_lo, s8, v0
	v_add_co_ci_u32_e32 v1, vcc_lo, s9, v1, vcc_lo
	s_delay_alu instid0(VALU_DEP_3) | instskip(NEXT) | instid1(VALU_DEP_1)
	v_lshlrev_b64 v[2:3], 1, v[2:3]
	v_add_co_u32 v2, vcc_lo, s0, v2
	s_delay_alu instid0(VALU_DEP_2)
	v_add_co_ci_u32_e32 v3, vcc_lo, s1, v3, vcc_lo
	global_load_u16 v0, v[0:1], off
	global_load_u16 v1, v[2:3], off
	s_waitcnt vmcnt(0)
	v_fma_mixlo_f16 v0, s6, v0, v1 op_sel_hi:[0,1,1]
	global_store_b16 v[2:3], v0, off
.LBB7_4:
	s_nop 0
	s_sendmsg sendmsg(MSG_DEALLOC_VGPRS)
	s_endpgm
	.section	.rodata,"a",@progbits
	.p2align	6, 0x0
	.amdhsa_kernel _ZN9rocsparseL12axpyi_kernelILj256EflDF16_DF16_EEvT1_NS_24const_host_device_scalarIT0_EEPKT2_PKS1_PT3_21rocsparse_index_base_b
		.amdhsa_group_segment_fixed_size 0
		.amdhsa_private_segment_fixed_size 0
		.amdhsa_kernarg_size 48
		.amdhsa_user_sgpr_count 15
		.amdhsa_user_sgpr_dispatch_ptr 0
		.amdhsa_user_sgpr_queue_ptr 0
		.amdhsa_user_sgpr_kernarg_segment_ptr 1
		.amdhsa_user_sgpr_dispatch_id 0
		.amdhsa_user_sgpr_private_segment_size 0
		.amdhsa_wavefront_size32 1
		.amdhsa_uses_dynamic_stack 0
		.amdhsa_enable_private_segment 0
		.amdhsa_system_sgpr_workgroup_id_x 1
		.amdhsa_system_sgpr_workgroup_id_y 0
		.amdhsa_system_sgpr_workgroup_id_z 0
		.amdhsa_system_sgpr_workgroup_info 0
		.amdhsa_system_vgpr_workitem_id 0
		.amdhsa_next_free_vgpr 4
		.amdhsa_next_free_sgpr 16
		.amdhsa_reserve_vcc 1
		.amdhsa_float_round_mode_32 0
		.amdhsa_float_round_mode_16_64 0
		.amdhsa_float_denorm_mode_32 3
		.amdhsa_float_denorm_mode_16_64 3
		.amdhsa_dx10_clamp 1
		.amdhsa_ieee_mode 1
		.amdhsa_fp16_overflow 0
		.amdhsa_workgroup_processor_mode 1
		.amdhsa_memory_ordered 1
		.amdhsa_forward_progress 0
		.amdhsa_shared_vgpr_count 0
		.amdhsa_exception_fp_ieee_invalid_op 0
		.amdhsa_exception_fp_denorm_src 0
		.amdhsa_exception_fp_ieee_div_zero 0
		.amdhsa_exception_fp_ieee_overflow 0
		.amdhsa_exception_fp_ieee_underflow 0
		.amdhsa_exception_fp_ieee_inexact 0
		.amdhsa_exception_int_div_zero 0
	.end_amdhsa_kernel
	.section	.text._ZN9rocsparseL12axpyi_kernelILj256EflDF16_DF16_EEvT1_NS_24const_host_device_scalarIT0_EEPKT2_PKS1_PT3_21rocsparse_index_base_b,"axG",@progbits,_ZN9rocsparseL12axpyi_kernelILj256EflDF16_DF16_EEvT1_NS_24const_host_device_scalarIT0_EEPKT2_PKS1_PT3_21rocsparse_index_base_b,comdat
.Lfunc_end7:
	.size	_ZN9rocsparseL12axpyi_kernelILj256EflDF16_DF16_EEvT1_NS_24const_host_device_scalarIT0_EEPKT2_PKS1_PT3_21rocsparse_index_base_b, .Lfunc_end7-_ZN9rocsparseL12axpyi_kernelILj256EflDF16_DF16_EEvT1_NS_24const_host_device_scalarIT0_EEPKT2_PKS1_PT3_21rocsparse_index_base_b
                                        ; -- End function
	.section	.AMDGPU.csdata,"",@progbits
; Kernel info:
; codeLenInByte = 264
; NumSgprs: 18
; NumVgprs: 4
; ScratchSize: 0
; MemoryBound: 0
; FloatMode: 240
; IeeeMode: 1
; LDSByteSize: 0 bytes/workgroup (compile time only)
; SGPRBlocks: 2
; VGPRBlocks: 0
; NumSGPRsForWavesPerEU: 18
; NumVGPRsForWavesPerEU: 4
; Occupancy: 16
; WaveLimiterHint : 1
; COMPUTE_PGM_RSRC2:SCRATCH_EN: 0
; COMPUTE_PGM_RSRC2:USER_SGPR: 15
; COMPUTE_PGM_RSRC2:TRAP_HANDLER: 0
; COMPUTE_PGM_RSRC2:TGID_X_EN: 1
; COMPUTE_PGM_RSRC2:TGID_Y_EN: 0
; COMPUTE_PGM_RSRC2:TGID_Z_EN: 0
; COMPUTE_PGM_RSRC2:TIDIG_COMP_CNT: 0
	.section	.text._ZN9rocsparseL12axpyi_kernelILj256EflffEEvT1_NS_24const_host_device_scalarIT0_EEPKT2_PKS1_PT3_21rocsparse_index_base_b,"axG",@progbits,_ZN9rocsparseL12axpyi_kernelILj256EflffEEvT1_NS_24const_host_device_scalarIT0_EEPKT2_PKS1_PT3_21rocsparse_index_base_b,comdat
	.globl	_ZN9rocsparseL12axpyi_kernelILj256EflffEEvT1_NS_24const_host_device_scalarIT0_EEPKT2_PKS1_PT3_21rocsparse_index_base_b ; -- Begin function _ZN9rocsparseL12axpyi_kernelILj256EflffEEvT1_NS_24const_host_device_scalarIT0_EEPKT2_PKS1_PT3_21rocsparse_index_base_b
	.p2align	8
	.type	_ZN9rocsparseL12axpyi_kernelILj256EflffEEvT1_NS_24const_host_device_scalarIT0_EEPKT2_PKS1_PT3_21rocsparse_index_base_b,@function
_ZN9rocsparseL12axpyi_kernelILj256EflffEEvT1_NS_24const_host_device_scalarIT0_EEPKT2_PKS1_PT3_21rocsparse_index_base_b: ; @_ZN9rocsparseL12axpyi_kernelILj256EflffEEvT1_NS_24const_host_device_scalarIT0_EEPKT2_PKS1_PT3_21rocsparse_index_base_b
; %bb.0:
	s_clause 0x1
	s_load_b64 s[2:3], s[0:1], 0x28
	s_load_b128 s[4:7], s[0:1], 0x0
	s_waitcnt lgkmcnt(0)
	s_bitcmp1_b32 s3, 0
	s_cselect_b32 s3, -1, 0
	s_delay_alu instid0(SALU_CYCLE_1)
	s_and_b32 vcc_lo, exec_lo, s3
	s_cbranch_vccnz .LBB8_2
; %bb.1:
	s_load_b32 s6, s[6:7], 0x0
.LBB8_2:
	v_lshl_or_b32 v0, s15, 8, v0
	v_mov_b32_e32 v1, 0
	s_waitcnt lgkmcnt(0)
	v_cmp_neq_f32_e64 s3, s6, 0
	s_delay_alu instid0(VALU_DEP_2) | instskip(NEXT) | instid1(VALU_DEP_2)
	v_cmp_gt_i64_e32 vcc_lo, s[4:5], v[0:1]
	s_and_b32 s3, s3, vcc_lo
	s_delay_alu instid0(SALU_CYCLE_1)
	s_and_saveexec_b32 s4, s3
	s_cbranch_execz .LBB8_4
; %bb.3:
	s_load_b128 s[8:11], s[0:1], 0x10
	v_lshlrev_b64 v[2:3], 3, v[0:1]
	s_load_b64 s[0:1], s[0:1], 0x20
	v_lshlrev_b64 v[0:1], 2, v[0:1]
	s_waitcnt lgkmcnt(0)
	s_delay_alu instid0(VALU_DEP_2) | instskip(NEXT) | instid1(VALU_DEP_3)
	v_add_co_u32 v2, vcc_lo, s10, v2
	v_add_co_ci_u32_e32 v3, vcc_lo, s11, v3, vcc_lo
	global_load_b64 v[2:3], v[2:3], off
	s_waitcnt vmcnt(0)
	v_sub_co_u32 v2, vcc_lo, v2, s2
	v_subrev_co_ci_u32_e32 v3, vcc_lo, 0, v3, vcc_lo
	v_add_co_u32 v0, vcc_lo, s8, v0
	v_add_co_ci_u32_e32 v1, vcc_lo, s9, v1, vcc_lo
	s_delay_alu instid0(VALU_DEP_3) | instskip(NEXT) | instid1(VALU_DEP_1)
	v_lshlrev_b64 v[2:3], 2, v[2:3]
	v_add_co_u32 v2, vcc_lo, s0, v2
	s_delay_alu instid0(VALU_DEP_2)
	v_add_co_ci_u32_e32 v3, vcc_lo, s1, v3, vcc_lo
	global_load_b32 v0, v[0:1], off
	global_load_b32 v1, v[2:3], off
	s_waitcnt vmcnt(0)
	v_fmac_f32_e32 v1, s6, v0
	global_store_b32 v[2:3], v1, off
.LBB8_4:
	s_nop 0
	s_sendmsg sendmsg(MSG_DEALLOC_VGPRS)
	s_endpgm
	.section	.rodata,"a",@progbits
	.p2align	6, 0x0
	.amdhsa_kernel _ZN9rocsparseL12axpyi_kernelILj256EflffEEvT1_NS_24const_host_device_scalarIT0_EEPKT2_PKS1_PT3_21rocsparse_index_base_b
		.amdhsa_group_segment_fixed_size 0
		.amdhsa_private_segment_fixed_size 0
		.amdhsa_kernarg_size 48
		.amdhsa_user_sgpr_count 15
		.amdhsa_user_sgpr_dispatch_ptr 0
		.amdhsa_user_sgpr_queue_ptr 0
		.amdhsa_user_sgpr_kernarg_segment_ptr 1
		.amdhsa_user_sgpr_dispatch_id 0
		.amdhsa_user_sgpr_private_segment_size 0
		.amdhsa_wavefront_size32 1
		.amdhsa_uses_dynamic_stack 0
		.amdhsa_enable_private_segment 0
		.amdhsa_system_sgpr_workgroup_id_x 1
		.amdhsa_system_sgpr_workgroup_id_y 0
		.amdhsa_system_sgpr_workgroup_id_z 0
		.amdhsa_system_sgpr_workgroup_info 0
		.amdhsa_system_vgpr_workitem_id 0
		.amdhsa_next_free_vgpr 4
		.amdhsa_next_free_sgpr 16
		.amdhsa_reserve_vcc 1
		.amdhsa_float_round_mode_32 0
		.amdhsa_float_round_mode_16_64 0
		.amdhsa_float_denorm_mode_32 3
		.amdhsa_float_denorm_mode_16_64 3
		.amdhsa_dx10_clamp 1
		.amdhsa_ieee_mode 1
		.amdhsa_fp16_overflow 0
		.amdhsa_workgroup_processor_mode 1
		.amdhsa_memory_ordered 1
		.amdhsa_forward_progress 0
		.amdhsa_shared_vgpr_count 0
		.amdhsa_exception_fp_ieee_invalid_op 0
		.amdhsa_exception_fp_denorm_src 0
		.amdhsa_exception_fp_ieee_div_zero 0
		.amdhsa_exception_fp_ieee_overflow 0
		.amdhsa_exception_fp_ieee_underflow 0
		.amdhsa_exception_fp_ieee_inexact 0
		.amdhsa_exception_int_div_zero 0
	.end_amdhsa_kernel
	.section	.text._ZN9rocsparseL12axpyi_kernelILj256EflffEEvT1_NS_24const_host_device_scalarIT0_EEPKT2_PKS1_PT3_21rocsparse_index_base_b,"axG",@progbits,_ZN9rocsparseL12axpyi_kernelILj256EflffEEvT1_NS_24const_host_device_scalarIT0_EEPKT2_PKS1_PT3_21rocsparse_index_base_b,comdat
.Lfunc_end8:
	.size	_ZN9rocsparseL12axpyi_kernelILj256EflffEEvT1_NS_24const_host_device_scalarIT0_EEPKT2_PKS1_PT3_21rocsparse_index_base_b, .Lfunc_end8-_ZN9rocsparseL12axpyi_kernelILj256EflffEEvT1_NS_24const_host_device_scalarIT0_EEPKT2_PKS1_PT3_21rocsparse_index_base_b
                                        ; -- End function
	.section	.AMDGPU.csdata,"",@progbits
; Kernel info:
; codeLenInByte = 260
; NumSgprs: 18
; NumVgprs: 4
; ScratchSize: 0
; MemoryBound: 0
; FloatMode: 240
; IeeeMode: 1
; LDSByteSize: 0 bytes/workgroup (compile time only)
; SGPRBlocks: 2
; VGPRBlocks: 0
; NumSGPRsForWavesPerEU: 18
; NumVGPRsForWavesPerEU: 4
; Occupancy: 16
; WaveLimiterHint : 1
; COMPUTE_PGM_RSRC2:SCRATCH_EN: 0
; COMPUTE_PGM_RSRC2:USER_SGPR: 15
; COMPUTE_PGM_RSRC2:TRAP_HANDLER: 0
; COMPUTE_PGM_RSRC2:TGID_X_EN: 1
; COMPUTE_PGM_RSRC2:TGID_Y_EN: 0
; COMPUTE_PGM_RSRC2:TGID_Z_EN: 0
; COMPUTE_PGM_RSRC2:TIDIG_COMP_CNT: 0
	.section	.text._ZN9rocsparseL12axpyi_kernelILj256EdlddEEvT1_NS_24const_host_device_scalarIT0_EEPKT2_PKS1_PT3_21rocsparse_index_base_b,"axG",@progbits,_ZN9rocsparseL12axpyi_kernelILj256EdlddEEvT1_NS_24const_host_device_scalarIT0_EEPKT2_PKS1_PT3_21rocsparse_index_base_b,comdat
	.globl	_ZN9rocsparseL12axpyi_kernelILj256EdlddEEvT1_NS_24const_host_device_scalarIT0_EEPKT2_PKS1_PT3_21rocsparse_index_base_b ; -- Begin function _ZN9rocsparseL12axpyi_kernelILj256EdlddEEvT1_NS_24const_host_device_scalarIT0_EEPKT2_PKS1_PT3_21rocsparse_index_base_b
	.p2align	8
	.type	_ZN9rocsparseL12axpyi_kernelILj256EdlddEEvT1_NS_24const_host_device_scalarIT0_EEPKT2_PKS1_PT3_21rocsparse_index_base_b,@function
_ZN9rocsparseL12axpyi_kernelILj256EdlddEEvT1_NS_24const_host_device_scalarIT0_EEPKT2_PKS1_PT3_21rocsparse_index_base_b: ; @_ZN9rocsparseL12axpyi_kernelILj256EdlddEEvT1_NS_24const_host_device_scalarIT0_EEPKT2_PKS1_PT3_21rocsparse_index_base_b
; %bb.0:
	s_clause 0x1
	s_load_b64 s[8:9], s[0:1], 0x28
	s_load_b128 s[4:7], s[0:1], 0x0
	s_waitcnt lgkmcnt(0)
	s_bitcmp1_b32 s9, 0
	v_dual_mov_b32 v1, s6 :: v_dual_mov_b32 v2, s7
	s_cselect_b32 s2, -1, 0
	s_delay_alu instid0(SALU_CYCLE_1)
	s_and_b32 vcc_lo, exec_lo, s2
	s_cbranch_vccnz .LBB9_2
; %bb.1:
	v_dual_mov_b32 v1, s6 :: v_dual_mov_b32 v2, s7
	flat_load_b64 v[1:2], v[1:2]
.LBB9_2:
	s_waitcnt vmcnt(0) lgkmcnt(0)
	v_cmp_neq_f64_e32 vcc_lo, 0, v[1:2]
	v_lshl_or_b32 v3, s15, 8, v0
	v_mov_b32_e32 v4, 0
	s_delay_alu instid0(VALU_DEP_1) | instskip(NEXT) | instid1(VALU_DEP_1)
	v_cmp_gt_i64_e64 s2, s[4:5], v[3:4]
	s_and_b32 s2, vcc_lo, s2
	s_delay_alu instid0(SALU_CYCLE_1)
	s_and_saveexec_b32 s3, s2
	s_cbranch_execz .LBB9_4
; %bb.3:
	s_load_b128 s[4:7], s[0:1], 0x10
	v_lshlrev_b64 v[3:4], 3, v[3:4]
	s_load_b64 s[0:1], s[0:1], 0x20
	s_waitcnt lgkmcnt(0)
	s_delay_alu instid0(VALU_DEP_1) | instskip(NEXT) | instid1(VALU_DEP_2)
	v_add_co_u32 v5, vcc_lo, s6, v3
	v_add_co_ci_u32_e32 v6, vcc_lo, s7, v4, vcc_lo
	global_load_b64 v[5:6], v[5:6], off
	s_waitcnt vmcnt(0)
	v_sub_co_u32 v5, vcc_lo, v5, s8
	v_subrev_co_ci_u32_e32 v6, vcc_lo, 0, v6, vcc_lo
	v_add_co_u32 v3, vcc_lo, s4, v3
	v_add_co_ci_u32_e32 v4, vcc_lo, s5, v4, vcc_lo
	s_delay_alu instid0(VALU_DEP_3) | instskip(NEXT) | instid1(VALU_DEP_1)
	v_lshlrev_b64 v[5:6], 3, v[5:6]
	v_add_co_u32 v5, vcc_lo, s0, v5
	s_delay_alu instid0(VALU_DEP_2)
	v_add_co_ci_u32_e32 v6, vcc_lo, s1, v6, vcc_lo
	global_load_b64 v[3:4], v[3:4], off
	global_load_b64 v[7:8], v[5:6], off
	s_waitcnt vmcnt(0)
	v_fma_f64 v[0:1], v[1:2], v[3:4], v[7:8]
	global_store_b64 v[5:6], v[0:1], off
.LBB9_4:
	s_nop 0
	s_sendmsg sendmsg(MSG_DEALLOC_VGPRS)
	s_endpgm
	.section	.rodata,"a",@progbits
	.p2align	6, 0x0
	.amdhsa_kernel _ZN9rocsparseL12axpyi_kernelILj256EdlddEEvT1_NS_24const_host_device_scalarIT0_EEPKT2_PKS1_PT3_21rocsparse_index_base_b
		.amdhsa_group_segment_fixed_size 0
		.amdhsa_private_segment_fixed_size 0
		.amdhsa_kernarg_size 48
		.amdhsa_user_sgpr_count 15
		.amdhsa_user_sgpr_dispatch_ptr 0
		.amdhsa_user_sgpr_queue_ptr 0
		.amdhsa_user_sgpr_kernarg_segment_ptr 1
		.amdhsa_user_sgpr_dispatch_id 0
		.amdhsa_user_sgpr_private_segment_size 0
		.amdhsa_wavefront_size32 1
		.amdhsa_uses_dynamic_stack 0
		.amdhsa_enable_private_segment 0
		.amdhsa_system_sgpr_workgroup_id_x 1
		.amdhsa_system_sgpr_workgroup_id_y 0
		.amdhsa_system_sgpr_workgroup_id_z 0
		.amdhsa_system_sgpr_workgroup_info 0
		.amdhsa_system_vgpr_workitem_id 0
		.amdhsa_next_free_vgpr 9
		.amdhsa_next_free_sgpr 16
		.amdhsa_reserve_vcc 1
		.amdhsa_float_round_mode_32 0
		.amdhsa_float_round_mode_16_64 0
		.amdhsa_float_denorm_mode_32 3
		.amdhsa_float_denorm_mode_16_64 3
		.amdhsa_dx10_clamp 1
		.amdhsa_ieee_mode 1
		.amdhsa_fp16_overflow 0
		.amdhsa_workgroup_processor_mode 1
		.amdhsa_memory_ordered 1
		.amdhsa_forward_progress 0
		.amdhsa_shared_vgpr_count 0
		.amdhsa_exception_fp_ieee_invalid_op 0
		.amdhsa_exception_fp_denorm_src 0
		.amdhsa_exception_fp_ieee_div_zero 0
		.amdhsa_exception_fp_ieee_overflow 0
		.amdhsa_exception_fp_ieee_underflow 0
		.amdhsa_exception_fp_ieee_inexact 0
		.amdhsa_exception_int_div_zero 0
	.end_amdhsa_kernel
	.section	.text._ZN9rocsparseL12axpyi_kernelILj256EdlddEEvT1_NS_24const_host_device_scalarIT0_EEPKT2_PKS1_PT3_21rocsparse_index_base_b,"axG",@progbits,_ZN9rocsparseL12axpyi_kernelILj256EdlddEEvT1_NS_24const_host_device_scalarIT0_EEPKT2_PKS1_PT3_21rocsparse_index_base_b,comdat
.Lfunc_end9:
	.size	_ZN9rocsparseL12axpyi_kernelILj256EdlddEEvT1_NS_24const_host_device_scalarIT0_EEPKT2_PKS1_PT3_21rocsparse_index_base_b, .Lfunc_end9-_ZN9rocsparseL12axpyi_kernelILj256EdlddEEvT1_NS_24const_host_device_scalarIT0_EEPKT2_PKS1_PT3_21rocsparse_index_base_b
                                        ; -- End function
	.section	.AMDGPU.csdata,"",@progbits
; Kernel info:
; codeLenInByte = 272
; NumSgprs: 18
; NumVgprs: 9
; ScratchSize: 0
; MemoryBound: 0
; FloatMode: 240
; IeeeMode: 1
; LDSByteSize: 0 bytes/workgroup (compile time only)
; SGPRBlocks: 2
; VGPRBlocks: 1
; NumSGPRsForWavesPerEU: 18
; NumVGPRsForWavesPerEU: 9
; Occupancy: 16
; WaveLimiterHint : 1
; COMPUTE_PGM_RSRC2:SCRATCH_EN: 0
; COMPUTE_PGM_RSRC2:USER_SGPR: 15
; COMPUTE_PGM_RSRC2:TRAP_HANDLER: 0
; COMPUTE_PGM_RSRC2:TGID_X_EN: 1
; COMPUTE_PGM_RSRC2:TGID_Y_EN: 0
; COMPUTE_PGM_RSRC2:TGID_Z_EN: 0
; COMPUTE_PGM_RSRC2:TIDIG_COMP_CNT: 0
	.section	.text._ZN9rocsparseL12axpyi_kernelILj256E21rocsparse_complex_numIfElS2_S2_EEvT1_NS_24const_host_device_scalarIT0_EEPKT2_PKS3_PT3_21rocsparse_index_base_b,"axG",@progbits,_ZN9rocsparseL12axpyi_kernelILj256E21rocsparse_complex_numIfElS2_S2_EEvT1_NS_24const_host_device_scalarIT0_EEPKT2_PKS3_PT3_21rocsparse_index_base_b,comdat
	.globl	_ZN9rocsparseL12axpyi_kernelILj256E21rocsparse_complex_numIfElS2_S2_EEvT1_NS_24const_host_device_scalarIT0_EEPKT2_PKS3_PT3_21rocsparse_index_base_b ; -- Begin function _ZN9rocsparseL12axpyi_kernelILj256E21rocsparse_complex_numIfElS2_S2_EEvT1_NS_24const_host_device_scalarIT0_EEPKT2_PKS3_PT3_21rocsparse_index_base_b
	.p2align	8
	.type	_ZN9rocsparseL12axpyi_kernelILj256E21rocsparse_complex_numIfElS2_S2_EEvT1_NS_24const_host_device_scalarIT0_EEPKT2_PKS3_PT3_21rocsparse_index_base_b,@function
_ZN9rocsparseL12axpyi_kernelILj256E21rocsparse_complex_numIfElS2_S2_EEvT1_NS_24const_host_device_scalarIT0_EEPKT2_PKS3_PT3_21rocsparse_index_base_b: ; @_ZN9rocsparseL12axpyi_kernelILj256E21rocsparse_complex_numIfElS2_S2_EEvT1_NS_24const_host_device_scalarIT0_EEPKT2_PKS3_PT3_21rocsparse_index_base_b
; %bb.0:
	s_clause 0x2
	s_load_b64 s[8:9], s[0:1], 0x28
	s_load_b64 s[2:3], s[0:1], 0x8
	s_load_b128 s[4:7], s[0:1], 0x0
	s_waitcnt lgkmcnt(0)
	s_bitcmp1_b32 s9, 0
	v_mov_b32_e32 v2, s2
	s_cselect_b32 s9, -1, 0
	s_delay_alu instid0(SALU_CYCLE_1)
	s_and_b32 vcc_lo, exec_lo, s9
	s_xor_b32 s2, s9, -1
	s_cbranch_vccnz .LBB10_2
; %bb.1:
	v_dual_mov_b32 v1, s6 :: v_dual_mov_b32 v2, s7
	flat_load_b32 v2, v[1:2]
.LBB10_2:
	v_mov_b32_e32 v3, s3
	s_and_not1_b32 vcc_lo, exec_lo, s2
	s_cbranch_vccnz .LBB10_4
; %bb.3:
	v_dual_mov_b32 v3, s6 :: v_dual_mov_b32 v4, s7
	flat_load_b32 v3, v[3:4] offset:4
.LBB10_4:
	v_lshl_or_b32 v0, s15, 8, v0
	v_mov_b32_e32 v1, 0
	s_waitcnt vmcnt(0) lgkmcnt(0)
	v_cmp_neq_f32_e32 vcc_lo, 0, v2
	v_cmp_neq_f32_e64 s2, 0, v3
	s_delay_alu instid0(VALU_DEP_3) | instskip(NEXT) | instid1(VALU_DEP_2)
	v_cmp_gt_i64_e64 s3, s[4:5], v[0:1]
	s_or_b32 s2, vcc_lo, s2
	s_delay_alu instid0(VALU_DEP_1) | instid1(SALU_CYCLE_1)
	s_and_b32 s2, s2, s3
	s_delay_alu instid0(SALU_CYCLE_1)
	s_and_saveexec_b32 s3, s2
	s_cbranch_execz .LBB10_6
; %bb.5:
	s_load_b128 s[4:7], s[0:1], 0x10
	v_lshlrev_b64 v[0:1], 3, v[0:1]
	s_load_b64 s[0:1], s[0:1], 0x20
	s_waitcnt lgkmcnt(0)
	s_delay_alu instid0(VALU_DEP_1) | instskip(NEXT) | instid1(VALU_DEP_2)
	v_add_co_u32 v4, vcc_lo, s6, v0
	v_add_co_ci_u32_e32 v5, vcc_lo, s7, v1, vcc_lo
	global_load_b64 v[4:5], v[4:5], off
	s_waitcnt vmcnt(0)
	v_sub_co_u32 v4, vcc_lo, v4, s8
	v_subrev_co_ci_u32_e32 v5, vcc_lo, 0, v5, vcc_lo
	v_add_co_u32 v0, vcc_lo, s4, v0
	v_add_co_ci_u32_e32 v1, vcc_lo, s5, v1, vcc_lo
	s_delay_alu instid0(VALU_DEP_3) | instskip(NEXT) | instid1(VALU_DEP_1)
	v_lshlrev_b64 v[4:5], 3, v[4:5]
	v_add_co_u32 v4, vcc_lo, s0, v4
	s_delay_alu instid0(VALU_DEP_2)
	v_add_co_ci_u32_e32 v5, vcc_lo, s1, v5, vcc_lo
	global_load_b64 v[0:1], v[0:1], off
	global_load_b64 v[6:7], v[4:5], off
	s_waitcnt vmcnt(0)
	v_fma_f32 v6, v2, v0, v6
	v_fmac_f32_e32 v7, v3, v0
	s_delay_alu instid0(VALU_DEP_2) | instskip(NEXT) | instid1(VALU_DEP_2)
	v_fma_f32 v6, -v3, v1, v6
	v_fmac_f32_e32 v7, v2, v1
	global_store_b64 v[4:5], v[6:7], off
.LBB10_6:
	s_nop 0
	s_sendmsg sendmsg(MSG_DEALLOC_VGPRS)
	s_endpgm
	.section	.rodata,"a",@progbits
	.p2align	6, 0x0
	.amdhsa_kernel _ZN9rocsparseL12axpyi_kernelILj256E21rocsparse_complex_numIfElS2_S2_EEvT1_NS_24const_host_device_scalarIT0_EEPKT2_PKS3_PT3_21rocsparse_index_base_b
		.amdhsa_group_segment_fixed_size 0
		.amdhsa_private_segment_fixed_size 0
		.amdhsa_kernarg_size 48
		.amdhsa_user_sgpr_count 15
		.amdhsa_user_sgpr_dispatch_ptr 0
		.amdhsa_user_sgpr_queue_ptr 0
		.amdhsa_user_sgpr_kernarg_segment_ptr 1
		.amdhsa_user_sgpr_dispatch_id 0
		.amdhsa_user_sgpr_private_segment_size 0
		.amdhsa_wavefront_size32 1
		.amdhsa_uses_dynamic_stack 0
		.amdhsa_enable_private_segment 0
		.amdhsa_system_sgpr_workgroup_id_x 1
		.amdhsa_system_sgpr_workgroup_id_y 0
		.amdhsa_system_sgpr_workgroup_id_z 0
		.amdhsa_system_sgpr_workgroup_info 0
		.amdhsa_system_vgpr_workitem_id 0
		.amdhsa_next_free_vgpr 8
		.amdhsa_next_free_sgpr 16
		.amdhsa_reserve_vcc 1
		.amdhsa_float_round_mode_32 0
		.amdhsa_float_round_mode_16_64 0
		.amdhsa_float_denorm_mode_32 3
		.amdhsa_float_denorm_mode_16_64 3
		.amdhsa_dx10_clamp 1
		.amdhsa_ieee_mode 1
		.amdhsa_fp16_overflow 0
		.amdhsa_workgroup_processor_mode 1
		.amdhsa_memory_ordered 1
		.amdhsa_forward_progress 0
		.amdhsa_shared_vgpr_count 0
		.amdhsa_exception_fp_ieee_invalid_op 0
		.amdhsa_exception_fp_denorm_src 0
		.amdhsa_exception_fp_ieee_div_zero 0
		.amdhsa_exception_fp_ieee_overflow 0
		.amdhsa_exception_fp_ieee_underflow 0
		.amdhsa_exception_fp_ieee_inexact 0
		.amdhsa_exception_int_div_zero 0
	.end_amdhsa_kernel
	.section	.text._ZN9rocsparseL12axpyi_kernelILj256E21rocsparse_complex_numIfElS2_S2_EEvT1_NS_24const_host_device_scalarIT0_EEPKT2_PKS3_PT3_21rocsparse_index_base_b,"axG",@progbits,_ZN9rocsparseL12axpyi_kernelILj256E21rocsparse_complex_numIfElS2_S2_EEvT1_NS_24const_host_device_scalarIT0_EEPKT2_PKS3_PT3_21rocsparse_index_base_b,comdat
.Lfunc_end10:
	.size	_ZN9rocsparseL12axpyi_kernelILj256E21rocsparse_complex_numIfElS2_S2_EEvT1_NS_24const_host_device_scalarIT0_EEPKT2_PKS3_PT3_21rocsparse_index_base_b, .Lfunc_end10-_ZN9rocsparseL12axpyi_kernelILj256E21rocsparse_complex_numIfElS2_S2_EEvT1_NS_24const_host_device_scalarIT0_EEPKT2_PKS3_PT3_21rocsparse_index_base_b
                                        ; -- End function
	.section	.AMDGPU.csdata,"",@progbits
; Kernel info:
; codeLenInByte = 344
; NumSgprs: 18
; NumVgprs: 8
; ScratchSize: 0
; MemoryBound: 0
; FloatMode: 240
; IeeeMode: 1
; LDSByteSize: 0 bytes/workgroup (compile time only)
; SGPRBlocks: 2
; VGPRBlocks: 0
; NumSGPRsForWavesPerEU: 18
; NumVGPRsForWavesPerEU: 8
; Occupancy: 16
; WaveLimiterHint : 1
; COMPUTE_PGM_RSRC2:SCRATCH_EN: 0
; COMPUTE_PGM_RSRC2:USER_SGPR: 15
; COMPUTE_PGM_RSRC2:TRAP_HANDLER: 0
; COMPUTE_PGM_RSRC2:TGID_X_EN: 1
; COMPUTE_PGM_RSRC2:TGID_Y_EN: 0
; COMPUTE_PGM_RSRC2:TGID_Z_EN: 0
; COMPUTE_PGM_RSRC2:TIDIG_COMP_CNT: 0
	.section	.text._ZN9rocsparseL12axpyi_kernelILj256E21rocsparse_complex_numIdElS2_S2_EEvT1_NS_24const_host_device_scalarIT0_EEPKT2_PKS3_PT3_21rocsparse_index_base_b,"axG",@progbits,_ZN9rocsparseL12axpyi_kernelILj256E21rocsparse_complex_numIdElS2_S2_EEvT1_NS_24const_host_device_scalarIT0_EEPKT2_PKS3_PT3_21rocsparse_index_base_b,comdat
	.globl	_ZN9rocsparseL12axpyi_kernelILj256E21rocsparse_complex_numIdElS2_S2_EEvT1_NS_24const_host_device_scalarIT0_EEPKT2_PKS3_PT3_21rocsparse_index_base_b ; -- Begin function _ZN9rocsparseL12axpyi_kernelILj256E21rocsparse_complex_numIdElS2_S2_EEvT1_NS_24const_host_device_scalarIT0_EEPKT2_PKS3_PT3_21rocsparse_index_base_b
	.p2align	8
	.type	_ZN9rocsparseL12axpyi_kernelILj256E21rocsparse_complex_numIdElS2_S2_EEvT1_NS_24const_host_device_scalarIT0_EEPKT2_PKS3_PT3_21rocsparse_index_base_b,@function
_ZN9rocsparseL12axpyi_kernelILj256E21rocsparse_complex_numIdElS2_S2_EEvT1_NS_24const_host_device_scalarIT0_EEPKT2_PKS3_PT3_21rocsparse_index_base_b: ; @_ZN9rocsparseL12axpyi_kernelILj256E21rocsparse_complex_numIdElS2_S2_EEvT1_NS_24const_host_device_scalarIT0_EEPKT2_PKS3_PT3_21rocsparse_index_base_b
; %bb.0:
	s_load_b64 s[0:1], s[0:1], 0x4
	s_clause 0x2
	s_load_b64 s[8:9], s[2:3], 0x30
	s_load_b128 s[4:7], s[2:3], 0x0
	s_load_b64 s[10:11], s[2:3], 0x10
	v_and_b32_e32 v4, 0x3ff, v0
	v_bfe_u32 v2, v0, 10, 10
	v_bfe_u32 v0, v0, 20, 10
	s_waitcnt lgkmcnt(0)
	s_lshr_b32 s0, s0, 16
	s_and_b32 s9, 1, s9
	s_mul_i32 s0, s0, s1
	s_cmp_eq_u32 s9, 1
	v_mul_lo_u32 v1, s0, v4
	s_cselect_b32 vcc_lo, -1, 0
	s_delay_alu instid0(VALU_DEP_1) | instskip(SKIP_1) | instid1(VALU_DEP_1)
	v_mad_u32_u24 v1, v2, s1, v1
	s_mov_b64 s[0:1], src_shared_base
	v_add_lshl_u32 v5, v1, v0, 3
	s_delay_alu instid0(VALU_DEP_1) | instskip(SKIP_2) | instid1(SALU_CYCLE_1)
	v_cndmask_b32_e32 v0, s6, v5, vcc_lo
	s_and_b32 vcc_lo, vcc_lo, exec_lo
	s_cselect_b32 s0, s1, s7
	v_dual_mov_b32 v2, s6 :: v_dual_mov_b32 v1, s0
	v_mov_b32_e32 v3, s7
	ds_store_b64 v5, v[2:3]
	flat_load_b64 v[0:1], v[0:1]
	v_dual_mov_b32 v2, s10 :: v_dual_mov_b32 v3, s11
	s_cbranch_vccnz .LBB11_2
; %bb.1:
	v_dual_mov_b32 v2, s6 :: v_dual_mov_b32 v3, s7
	flat_load_b64 v[2:3], v[2:3] offset:8
.LBB11_2:
	s_waitcnt vmcnt(0) lgkmcnt(0)
	v_cmp_neq_f64_e32 vcc_lo, 0, v[0:1]
	s_delay_alu instid0(VALU_DEP_2) | instskip(SKIP_2) | instid1(VALU_DEP_1)
	v_cmp_neq_f64_e64 s0, 0, v[2:3]
	v_lshl_or_b32 v4, s15, 8, v4
	v_mov_b32_e32 v5, 0
	v_cmp_gt_i64_e64 s1, s[4:5], v[4:5]
	s_delay_alu instid0(VALU_DEP_4)
	s_or_b32 s0, vcc_lo, s0
	s_delay_alu instid0(VALU_DEP_1) | instid1(SALU_CYCLE_1)
	s_and_b32 s0, s0, s1
	s_delay_alu instid0(SALU_CYCLE_1)
	s_and_saveexec_b32 s1, s0
	s_cbranch_execz .LBB11_4
; %bb.3:
	s_clause 0x1
	s_load_b128 s[4:7], s[2:3], 0x18
	s_load_b64 s[0:1], s[2:3], 0x28
	v_lshlrev_b64 v[6:7], 3, v[4:5]
	v_lshlrev_b64 v[4:5], 4, v[4:5]
	s_waitcnt lgkmcnt(0)
	s_delay_alu instid0(VALU_DEP_2) | instskip(NEXT) | instid1(VALU_DEP_3)
	v_add_co_u32 v6, vcc_lo, s6, v6
	v_add_co_ci_u32_e32 v7, vcc_lo, s7, v7, vcc_lo
	global_load_b64 v[6:7], v[6:7], off
	s_waitcnt vmcnt(0)
	v_sub_co_u32 v6, vcc_lo, v6, s8
	v_subrev_co_ci_u32_e32 v7, vcc_lo, 0, v7, vcc_lo
	v_add_co_u32 v4, vcc_lo, s4, v4
	v_add_co_ci_u32_e32 v5, vcc_lo, s5, v5, vcc_lo
	s_delay_alu instid0(VALU_DEP_3) | instskip(NEXT) | instid1(VALU_DEP_1)
	v_lshlrev_b64 v[6:7], 4, v[6:7]
	v_add_co_u32 v12, vcc_lo, s0, v6
	s_delay_alu instid0(VALU_DEP_2)
	v_add_co_ci_u32_e32 v13, vcc_lo, s1, v7, vcc_lo
	global_load_b128 v[4:7], v[4:5], off
	global_load_b128 v[8:11], v[12:13], off
	s_waitcnt vmcnt(0)
	v_fma_f64 v[8:9], v[0:1], v[4:5], v[8:9]
	v_fma_f64 v[4:5], v[2:3], v[4:5], v[10:11]
	s_delay_alu instid0(VALU_DEP_2) | instskip(NEXT) | instid1(VALU_DEP_2)
	v_fma_f64 v[2:3], -v[2:3], v[6:7], v[8:9]
	v_fma_f64 v[4:5], v[0:1], v[6:7], v[4:5]
	global_store_b128 v[12:13], v[2:5], off
.LBB11_4:
	s_nop 0
	s_sendmsg sendmsg(MSG_DEALLOC_VGPRS)
	s_endpgm
	.section	.rodata,"a",@progbits
	.p2align	6, 0x0
	.amdhsa_kernel _ZN9rocsparseL12axpyi_kernelILj256E21rocsparse_complex_numIdElS2_S2_EEvT1_NS_24const_host_device_scalarIT0_EEPKT2_PKS3_PT3_21rocsparse_index_base_b
		.amdhsa_group_segment_fixed_size 2048
		.amdhsa_private_segment_fixed_size 0
		.amdhsa_kernarg_size 56
		.amdhsa_user_sgpr_count 15
		.amdhsa_user_sgpr_dispatch_ptr 1
		.amdhsa_user_sgpr_queue_ptr 0
		.amdhsa_user_sgpr_kernarg_segment_ptr 1
		.amdhsa_user_sgpr_dispatch_id 0
		.amdhsa_user_sgpr_private_segment_size 0
		.amdhsa_wavefront_size32 1
		.amdhsa_uses_dynamic_stack 0
		.amdhsa_enable_private_segment 0
		.amdhsa_system_sgpr_workgroup_id_x 1
		.amdhsa_system_sgpr_workgroup_id_y 0
		.amdhsa_system_sgpr_workgroup_id_z 0
		.amdhsa_system_sgpr_workgroup_info 0
		.amdhsa_system_vgpr_workitem_id 2
		.amdhsa_next_free_vgpr 14
		.amdhsa_next_free_sgpr 16
		.amdhsa_reserve_vcc 1
		.amdhsa_float_round_mode_32 0
		.amdhsa_float_round_mode_16_64 0
		.amdhsa_float_denorm_mode_32 3
		.amdhsa_float_denorm_mode_16_64 3
		.amdhsa_dx10_clamp 1
		.amdhsa_ieee_mode 1
		.amdhsa_fp16_overflow 0
		.amdhsa_workgroup_processor_mode 1
		.amdhsa_memory_ordered 1
		.amdhsa_forward_progress 0
		.amdhsa_shared_vgpr_count 0
		.amdhsa_exception_fp_ieee_invalid_op 0
		.amdhsa_exception_fp_denorm_src 0
		.amdhsa_exception_fp_ieee_div_zero 0
		.amdhsa_exception_fp_ieee_overflow 0
		.amdhsa_exception_fp_ieee_underflow 0
		.amdhsa_exception_fp_ieee_inexact 0
		.amdhsa_exception_int_div_zero 0
	.end_amdhsa_kernel
	.section	.text._ZN9rocsparseL12axpyi_kernelILj256E21rocsparse_complex_numIdElS2_S2_EEvT1_NS_24const_host_device_scalarIT0_EEPKT2_PKS3_PT3_21rocsparse_index_base_b,"axG",@progbits,_ZN9rocsparseL12axpyi_kernelILj256E21rocsparse_complex_numIdElS2_S2_EEvT1_NS_24const_host_device_scalarIT0_EEPKT2_PKS3_PT3_21rocsparse_index_base_b,comdat
.Lfunc_end11:
	.size	_ZN9rocsparseL12axpyi_kernelILj256E21rocsparse_complex_numIdElS2_S2_EEvT1_NS_24const_host_device_scalarIT0_EEPKT2_PKS3_PT3_21rocsparse_index_base_b, .Lfunc_end11-_ZN9rocsparseL12axpyi_kernelILj256E21rocsparse_complex_numIdElS2_S2_EEvT1_NS_24const_host_device_scalarIT0_EEPKT2_PKS3_PT3_21rocsparse_index_base_b
                                        ; -- End function
	.section	.AMDGPU.csdata,"",@progbits
; Kernel info:
; codeLenInByte = 452
; NumSgprs: 18
; NumVgprs: 14
; ScratchSize: 0
; MemoryBound: 0
; FloatMode: 240
; IeeeMode: 1
; LDSByteSize: 2048 bytes/workgroup (compile time only)
; SGPRBlocks: 2
; VGPRBlocks: 1
; NumSGPRsForWavesPerEU: 18
; NumVGPRsForWavesPerEU: 14
; Occupancy: 16
; WaveLimiterHint : 1
; COMPUTE_PGM_RSRC2:SCRATCH_EN: 0
; COMPUTE_PGM_RSRC2:USER_SGPR: 15
; COMPUTE_PGM_RSRC2:TRAP_HANDLER: 0
; COMPUTE_PGM_RSRC2:TGID_X_EN: 1
; COMPUTE_PGM_RSRC2:TGID_Y_EN: 0
; COMPUTE_PGM_RSRC2:TGID_Z_EN: 0
; COMPUTE_PGM_RSRC2:TIDIG_COMP_CNT: 2
	.text
	.p2alignl 7, 3214868480
	.fill 96, 4, 3214868480
	.type	__hip_cuid_869f03ec0d69354a,@object ; @__hip_cuid_869f03ec0d69354a
	.section	.bss,"aw",@nobits
	.globl	__hip_cuid_869f03ec0d69354a
__hip_cuid_869f03ec0d69354a:
	.byte	0                               ; 0x0
	.size	__hip_cuid_869f03ec0d69354a, 1

	.ident	"AMD clang version 19.0.0git (https://github.com/RadeonOpenCompute/llvm-project roc-6.4.0 25133 c7fe45cf4b819c5991fe208aaa96edf142730f1d)"
	.section	".note.GNU-stack","",@progbits
	.addrsig
	.addrsig_sym __hip_cuid_869f03ec0d69354a
	.amdgpu_metadata
---
amdhsa.kernels:
  - .args:
      - .offset:         0
        .size:           4
        .value_kind:     by_value
      - .offset:         8
        .size:           8
        .value_kind:     by_value
      - .actual_access:  read_only
        .address_space:  global
        .offset:         16
        .size:           8
        .value_kind:     global_buffer
      - .actual_access:  read_only
        .address_space:  global
        .offset:         24
        .size:           8
        .value_kind:     global_buffer
      - .address_space:  global
        .offset:         32
        .size:           8
        .value_kind:     global_buffer
      - .offset:         40
        .size:           4
        .value_kind:     by_value
      - .offset:         44
        .size:           1
        .value_kind:     by_value
    .group_segment_fixed_size: 0
    .kernarg_segment_align: 8
    .kernarg_segment_size: 48
    .language:       OpenCL C
    .language_version:
      - 2
      - 0
    .max_flat_workgroup_size: 256
    .name:           _ZN9rocsparseL12axpyi_kernelILj256Efi18rocsparse_bfloat16S1_EEvT1_NS_24const_host_device_scalarIT0_EEPKT2_PKS2_PT3_21rocsparse_index_base_b
    .private_segment_fixed_size: 0
    .sgpr_count:     0
    .sgpr_spill_count: 0
    .symbol:         _ZN9rocsparseL12axpyi_kernelILj256Efi18rocsparse_bfloat16S1_EEvT1_NS_24const_host_device_scalarIT0_EEPKT2_PKS2_PT3_21rocsparse_index_base_b.kd
    .uniform_work_group_size: 1
    .uses_dynamic_stack: false
    .vgpr_count:     0
    .vgpr_spill_count: 0
    .wavefront_size: 32
    .workgroup_processor_mode: 1
  - .args:
      - .offset:         0
        .size:           4
        .value_kind:     by_value
      - .offset:         8
        .size:           8
        .value_kind:     by_value
      - .actual_access:  read_only
        .address_space:  global
        .offset:         16
        .size:           8
        .value_kind:     global_buffer
      - .actual_access:  read_only
        .address_space:  global
        .offset:         24
        .size:           8
        .value_kind:     global_buffer
      - .address_space:  global
        .offset:         32
        .size:           8
        .value_kind:     global_buffer
      - .offset:         40
        .size:           4
        .value_kind:     by_value
      - .offset:         44
        .size:           1
        .value_kind:     by_value
    .group_segment_fixed_size: 0
    .kernarg_segment_align: 8
    .kernarg_segment_size: 48
    .language:       OpenCL C
    .language_version:
      - 2
      - 0
    .max_flat_workgroup_size: 256
    .name:           _ZN9rocsparseL12axpyi_kernelILj256EfiDF16_DF16_EEvT1_NS_24const_host_device_scalarIT0_EEPKT2_PKS1_PT3_21rocsparse_index_base_b
    .private_segment_fixed_size: 0
    .sgpr_count:     18
    .sgpr_spill_count: 0
    .symbol:         _ZN9rocsparseL12axpyi_kernelILj256EfiDF16_DF16_EEvT1_NS_24const_host_device_scalarIT0_EEPKT2_PKS1_PT3_21rocsparse_index_base_b.kd
    .uniform_work_group_size: 1
    .uses_dynamic_stack: false
    .vgpr_count:     4
    .vgpr_spill_count: 0
    .wavefront_size: 32
    .workgroup_processor_mode: 1
  - .args:
      - .offset:         0
        .size:           4
        .value_kind:     by_value
      - .offset:         8
        .size:           8
        .value_kind:     by_value
      - .actual_access:  read_only
        .address_space:  global
        .offset:         16
        .size:           8
        .value_kind:     global_buffer
      - .actual_access:  read_only
        .address_space:  global
        .offset:         24
        .size:           8
        .value_kind:     global_buffer
      - .address_space:  global
        .offset:         32
        .size:           8
        .value_kind:     global_buffer
      - .offset:         40
        .size:           4
        .value_kind:     by_value
      - .offset:         44
        .size:           1
        .value_kind:     by_value
    .group_segment_fixed_size: 0
    .kernarg_segment_align: 8
    .kernarg_segment_size: 48
    .language:       OpenCL C
    .language_version:
      - 2
      - 0
    .max_flat_workgroup_size: 256
    .name:           _ZN9rocsparseL12axpyi_kernelILj256EfiffEEvT1_NS_24const_host_device_scalarIT0_EEPKT2_PKS1_PT3_21rocsparse_index_base_b
    .private_segment_fixed_size: 0
    .sgpr_count:     18
    .sgpr_spill_count: 0
    .symbol:         _ZN9rocsparseL12axpyi_kernelILj256EfiffEEvT1_NS_24const_host_device_scalarIT0_EEPKT2_PKS1_PT3_21rocsparse_index_base_b.kd
    .uniform_work_group_size: 1
    .uses_dynamic_stack: false
    .vgpr_count:     4
    .vgpr_spill_count: 0
    .wavefront_size: 32
    .workgroup_processor_mode: 1
  - .args:
      - .offset:         0
        .size:           4
        .value_kind:     by_value
      - .offset:         8
        .size:           8
        .value_kind:     by_value
      - .actual_access:  read_only
        .address_space:  global
        .offset:         16
        .size:           8
        .value_kind:     global_buffer
      - .actual_access:  read_only
        .address_space:  global
        .offset:         24
        .size:           8
        .value_kind:     global_buffer
      - .address_space:  global
        .offset:         32
        .size:           8
        .value_kind:     global_buffer
      - .offset:         40
        .size:           4
        .value_kind:     by_value
      - .offset:         44
        .size:           1
        .value_kind:     by_value
    .group_segment_fixed_size: 0
    .kernarg_segment_align: 8
    .kernarg_segment_size: 48
    .language:       OpenCL C
    .language_version:
      - 2
      - 0
    .max_flat_workgroup_size: 256
    .name:           _ZN9rocsparseL12axpyi_kernelILj256EdiddEEvT1_NS_24const_host_device_scalarIT0_EEPKT2_PKS1_PT3_21rocsparse_index_base_b
    .private_segment_fixed_size: 0
    .sgpr_count:     18
    .sgpr_spill_count: 0
    .symbol:         _ZN9rocsparseL12axpyi_kernelILj256EdiddEEvT1_NS_24const_host_device_scalarIT0_EEPKT2_PKS1_PT3_21rocsparse_index_base_b.kd
    .uniform_work_group_size: 1
    .uses_dynamic_stack: false
    .vgpr_count:     9
    .vgpr_spill_count: 0
    .wavefront_size: 32
    .workgroup_processor_mode: 1
  - .args:
      - .offset:         0
        .size:           4
        .value_kind:     by_value
      - .offset:         8
        .size:           8
        .value_kind:     by_value
      - .actual_access:  read_only
        .address_space:  global
        .offset:         16
        .size:           8
        .value_kind:     global_buffer
      - .actual_access:  read_only
        .address_space:  global
        .offset:         24
        .size:           8
        .value_kind:     global_buffer
      - .address_space:  global
        .offset:         32
        .size:           8
        .value_kind:     global_buffer
      - .offset:         40
        .size:           4
        .value_kind:     by_value
      - .offset:         44
        .size:           1
        .value_kind:     by_value
    .group_segment_fixed_size: 0
    .kernarg_segment_align: 8
    .kernarg_segment_size: 48
    .language:       OpenCL C
    .language_version:
      - 2
      - 0
    .max_flat_workgroup_size: 256
    .name:           _ZN9rocsparseL12axpyi_kernelILj256E21rocsparse_complex_numIfEiS2_S2_EEvT1_NS_24const_host_device_scalarIT0_EEPKT2_PKS3_PT3_21rocsparse_index_base_b
    .private_segment_fixed_size: 0
    .sgpr_count:     18
    .sgpr_spill_count: 0
    .symbol:         _ZN9rocsparseL12axpyi_kernelILj256E21rocsparse_complex_numIfEiS2_S2_EEvT1_NS_24const_host_device_scalarIT0_EEPKT2_PKS3_PT3_21rocsparse_index_base_b.kd
    .uniform_work_group_size: 1
    .uses_dynamic_stack: false
    .vgpr_count:     8
    .vgpr_spill_count: 0
    .wavefront_size: 32
    .workgroup_processor_mode: 1
  - .args:
      - .offset:         0
        .size:           4
        .value_kind:     by_value
      - .offset:         8
        .size:           16
        .value_kind:     by_value
      - .actual_access:  read_only
        .address_space:  global
        .offset:         24
        .size:           8
        .value_kind:     global_buffer
      - .actual_access:  read_only
        .address_space:  global
        .offset:         32
        .size:           8
        .value_kind:     global_buffer
      - .address_space:  global
        .offset:         40
        .size:           8
        .value_kind:     global_buffer
      - .offset:         48
        .size:           4
        .value_kind:     by_value
      - .offset:         52
        .size:           1
        .value_kind:     by_value
    .group_segment_fixed_size: 2048
    .kernarg_segment_align: 8
    .kernarg_segment_size: 56
    .language:       OpenCL C
    .language_version:
      - 2
      - 0
    .max_flat_workgroup_size: 256
    .name:           _ZN9rocsparseL12axpyi_kernelILj256E21rocsparse_complex_numIdEiS2_S2_EEvT1_NS_24const_host_device_scalarIT0_EEPKT2_PKS3_PT3_21rocsparse_index_base_b
    .private_segment_fixed_size: 0
    .sgpr_count:     18
    .sgpr_spill_count: 0
    .symbol:         _ZN9rocsparseL12axpyi_kernelILj256E21rocsparse_complex_numIdEiS2_S2_EEvT1_NS_24const_host_device_scalarIT0_EEPKT2_PKS3_PT3_21rocsparse_index_base_b.kd
    .uniform_work_group_size: 1
    .uses_dynamic_stack: false
    .vgpr_count:     14
    .vgpr_spill_count: 0
    .wavefront_size: 32
    .workgroup_processor_mode: 1
  - .args:
      - .offset:         0
        .size:           8
        .value_kind:     by_value
      - .offset:         8
        .size:           8
        .value_kind:     by_value
      - .actual_access:  read_only
        .address_space:  global
        .offset:         16
        .size:           8
        .value_kind:     global_buffer
      - .actual_access:  read_only
        .address_space:  global
        .offset:         24
        .size:           8
        .value_kind:     global_buffer
      - .address_space:  global
        .offset:         32
        .size:           8
        .value_kind:     global_buffer
      - .offset:         40
        .size:           4
        .value_kind:     by_value
      - .offset:         44
        .size:           1
        .value_kind:     by_value
    .group_segment_fixed_size: 0
    .kernarg_segment_align: 8
    .kernarg_segment_size: 48
    .language:       OpenCL C
    .language_version:
      - 2
      - 0
    .max_flat_workgroup_size: 256
    .name:           _ZN9rocsparseL12axpyi_kernelILj256Efl18rocsparse_bfloat16S1_EEvT1_NS_24const_host_device_scalarIT0_EEPKT2_PKS2_PT3_21rocsparse_index_base_b
    .private_segment_fixed_size: 0
    .sgpr_count:     0
    .sgpr_spill_count: 0
    .symbol:         _ZN9rocsparseL12axpyi_kernelILj256Efl18rocsparse_bfloat16S1_EEvT1_NS_24const_host_device_scalarIT0_EEPKT2_PKS2_PT3_21rocsparse_index_base_b.kd
    .uniform_work_group_size: 1
    .uses_dynamic_stack: false
    .vgpr_count:     0
    .vgpr_spill_count: 0
    .wavefront_size: 32
    .workgroup_processor_mode: 1
  - .args:
      - .offset:         0
        .size:           8
        .value_kind:     by_value
      - .offset:         8
        .size:           8
        .value_kind:     by_value
      - .actual_access:  read_only
        .address_space:  global
        .offset:         16
        .size:           8
        .value_kind:     global_buffer
      - .actual_access:  read_only
        .address_space:  global
        .offset:         24
        .size:           8
        .value_kind:     global_buffer
      - .address_space:  global
        .offset:         32
        .size:           8
        .value_kind:     global_buffer
      - .offset:         40
        .size:           4
        .value_kind:     by_value
      - .offset:         44
        .size:           1
        .value_kind:     by_value
    .group_segment_fixed_size: 0
    .kernarg_segment_align: 8
    .kernarg_segment_size: 48
    .language:       OpenCL C
    .language_version:
      - 2
      - 0
    .max_flat_workgroup_size: 256
    .name:           _ZN9rocsparseL12axpyi_kernelILj256EflDF16_DF16_EEvT1_NS_24const_host_device_scalarIT0_EEPKT2_PKS1_PT3_21rocsparse_index_base_b
    .private_segment_fixed_size: 0
    .sgpr_count:     18
    .sgpr_spill_count: 0
    .symbol:         _ZN9rocsparseL12axpyi_kernelILj256EflDF16_DF16_EEvT1_NS_24const_host_device_scalarIT0_EEPKT2_PKS1_PT3_21rocsparse_index_base_b.kd
    .uniform_work_group_size: 1
    .uses_dynamic_stack: false
    .vgpr_count:     4
    .vgpr_spill_count: 0
    .wavefront_size: 32
    .workgroup_processor_mode: 1
  - .args:
      - .offset:         0
        .size:           8
        .value_kind:     by_value
      - .offset:         8
        .size:           8
        .value_kind:     by_value
      - .actual_access:  read_only
        .address_space:  global
        .offset:         16
        .size:           8
        .value_kind:     global_buffer
      - .actual_access:  read_only
        .address_space:  global
        .offset:         24
        .size:           8
        .value_kind:     global_buffer
      - .address_space:  global
        .offset:         32
        .size:           8
        .value_kind:     global_buffer
      - .offset:         40
        .size:           4
        .value_kind:     by_value
      - .offset:         44
        .size:           1
        .value_kind:     by_value
    .group_segment_fixed_size: 0
    .kernarg_segment_align: 8
    .kernarg_segment_size: 48
    .language:       OpenCL C
    .language_version:
      - 2
      - 0
    .max_flat_workgroup_size: 256
    .name:           _ZN9rocsparseL12axpyi_kernelILj256EflffEEvT1_NS_24const_host_device_scalarIT0_EEPKT2_PKS1_PT3_21rocsparse_index_base_b
    .private_segment_fixed_size: 0
    .sgpr_count:     18
    .sgpr_spill_count: 0
    .symbol:         _ZN9rocsparseL12axpyi_kernelILj256EflffEEvT1_NS_24const_host_device_scalarIT0_EEPKT2_PKS1_PT3_21rocsparse_index_base_b.kd
    .uniform_work_group_size: 1
    .uses_dynamic_stack: false
    .vgpr_count:     4
    .vgpr_spill_count: 0
    .wavefront_size: 32
    .workgroup_processor_mode: 1
  - .args:
      - .offset:         0
        .size:           8
        .value_kind:     by_value
      - .offset:         8
        .size:           8
        .value_kind:     by_value
      - .actual_access:  read_only
        .address_space:  global
        .offset:         16
        .size:           8
        .value_kind:     global_buffer
      - .actual_access:  read_only
        .address_space:  global
        .offset:         24
        .size:           8
        .value_kind:     global_buffer
      - .address_space:  global
        .offset:         32
        .size:           8
        .value_kind:     global_buffer
      - .offset:         40
        .size:           4
        .value_kind:     by_value
      - .offset:         44
        .size:           1
        .value_kind:     by_value
    .group_segment_fixed_size: 0
    .kernarg_segment_align: 8
    .kernarg_segment_size: 48
    .language:       OpenCL C
    .language_version:
      - 2
      - 0
    .max_flat_workgroup_size: 256
    .name:           _ZN9rocsparseL12axpyi_kernelILj256EdlddEEvT1_NS_24const_host_device_scalarIT0_EEPKT2_PKS1_PT3_21rocsparse_index_base_b
    .private_segment_fixed_size: 0
    .sgpr_count:     18
    .sgpr_spill_count: 0
    .symbol:         _ZN9rocsparseL12axpyi_kernelILj256EdlddEEvT1_NS_24const_host_device_scalarIT0_EEPKT2_PKS1_PT3_21rocsparse_index_base_b.kd
    .uniform_work_group_size: 1
    .uses_dynamic_stack: false
    .vgpr_count:     9
    .vgpr_spill_count: 0
    .wavefront_size: 32
    .workgroup_processor_mode: 1
  - .args:
      - .offset:         0
        .size:           8
        .value_kind:     by_value
      - .offset:         8
        .size:           8
        .value_kind:     by_value
      - .actual_access:  read_only
        .address_space:  global
        .offset:         16
        .size:           8
        .value_kind:     global_buffer
      - .actual_access:  read_only
        .address_space:  global
        .offset:         24
        .size:           8
        .value_kind:     global_buffer
      - .address_space:  global
        .offset:         32
        .size:           8
        .value_kind:     global_buffer
      - .offset:         40
        .size:           4
        .value_kind:     by_value
      - .offset:         44
        .size:           1
        .value_kind:     by_value
    .group_segment_fixed_size: 0
    .kernarg_segment_align: 8
    .kernarg_segment_size: 48
    .language:       OpenCL C
    .language_version:
      - 2
      - 0
    .max_flat_workgroup_size: 256
    .name:           _ZN9rocsparseL12axpyi_kernelILj256E21rocsparse_complex_numIfElS2_S2_EEvT1_NS_24const_host_device_scalarIT0_EEPKT2_PKS3_PT3_21rocsparse_index_base_b
    .private_segment_fixed_size: 0
    .sgpr_count:     18
    .sgpr_spill_count: 0
    .symbol:         _ZN9rocsparseL12axpyi_kernelILj256E21rocsparse_complex_numIfElS2_S2_EEvT1_NS_24const_host_device_scalarIT0_EEPKT2_PKS3_PT3_21rocsparse_index_base_b.kd
    .uniform_work_group_size: 1
    .uses_dynamic_stack: false
    .vgpr_count:     8
    .vgpr_spill_count: 0
    .wavefront_size: 32
    .workgroup_processor_mode: 1
  - .args:
      - .offset:         0
        .size:           8
        .value_kind:     by_value
      - .offset:         8
        .size:           16
        .value_kind:     by_value
      - .actual_access:  read_only
        .address_space:  global
        .offset:         24
        .size:           8
        .value_kind:     global_buffer
      - .actual_access:  read_only
        .address_space:  global
        .offset:         32
        .size:           8
        .value_kind:     global_buffer
      - .address_space:  global
        .offset:         40
        .size:           8
        .value_kind:     global_buffer
      - .offset:         48
        .size:           4
        .value_kind:     by_value
      - .offset:         52
        .size:           1
        .value_kind:     by_value
    .group_segment_fixed_size: 2048
    .kernarg_segment_align: 8
    .kernarg_segment_size: 56
    .language:       OpenCL C
    .language_version:
      - 2
      - 0
    .max_flat_workgroup_size: 256
    .name:           _ZN9rocsparseL12axpyi_kernelILj256E21rocsparse_complex_numIdElS2_S2_EEvT1_NS_24const_host_device_scalarIT0_EEPKT2_PKS3_PT3_21rocsparse_index_base_b
    .private_segment_fixed_size: 0
    .sgpr_count:     18
    .sgpr_spill_count: 0
    .symbol:         _ZN9rocsparseL12axpyi_kernelILj256E21rocsparse_complex_numIdElS2_S2_EEvT1_NS_24const_host_device_scalarIT0_EEPKT2_PKS3_PT3_21rocsparse_index_base_b.kd
    .uniform_work_group_size: 1
    .uses_dynamic_stack: false
    .vgpr_count:     14
    .vgpr_spill_count: 0
    .wavefront_size: 32
    .workgroup_processor_mode: 1
amdhsa.target:   amdgcn-amd-amdhsa--gfx1100
amdhsa.version:
  - 1
  - 2
...

	.end_amdgpu_metadata
